;; amdgpu-corpus repo=zjin-lcf/HeCBench kind=compiled arch=gfx1250 opt=O3
	.amdgcn_target "amdgcn-amd-amdhsa--gfx1250"
	.amdhsa_code_object_version 6
	.text
	.protected	_Z15nbnxmKernelTestPK15HIP_vector_typeIfLj4EEPN3gmx11BasicVectorIfEES6_S6_P11nbnxn_cj4_tPK9nbnxn_sciPK12nbnxn_excl_tPKiPKS_IfLj2EEifffb ; -- Begin function _Z15nbnxmKernelTestPK15HIP_vector_typeIfLj4EEPN3gmx11BasicVectorIfEES6_S6_P11nbnxn_cj4_tPK9nbnxn_sciPK12nbnxn_excl_tPKiPKS_IfLj2EEifffb
	.globl	_Z15nbnxmKernelTestPK15HIP_vector_typeIfLj4EEPN3gmx11BasicVectorIfEES6_S6_P11nbnxn_cj4_tPK9nbnxn_sciPK12nbnxn_excl_tPKiPKS_IfLj2EEifffb
	.p2align	8
	.type	_Z15nbnxmKernelTestPK15HIP_vector_typeIfLj4EEPN3gmx11BasicVectorIfEES6_S6_P11nbnxn_cj4_tPK9nbnxn_sciPK12nbnxn_excl_tPKiPKS_IfLj2EEifffb,@function
_Z15nbnxmKernelTestPK15HIP_vector_typeIfLj4EEPN3gmx11BasicVectorIfEES6_S6_P11nbnxn_cj4_tPK9nbnxn_sciPK12nbnxn_excl_tPKiPKS_IfLj2EEifffb: ; @_Z15nbnxmKernelTestPK15HIP_vector_typeIfLj4EEPN3gmx11BasicVectorIfEES6_S6_P11nbnxn_cj4_tPK9nbnxn_sciPK12nbnxn_excl_tPKiPKS_IfLj2EEifffb
; %bb.0:
	s_load_b64 s[2:3], s[0:1], 0x28
	s_bfe_u32 s4, ttmp6, 0x40014
	s_lshr_b32 s5, ttmp7, 16
	s_add_co_i32 s4, s4, 1
	s_bfe_u32 s6, ttmp6, 0x40008
	s_mul_i32 s4, s5, s4
	s_getreg_b32 s7, hwreg(HW_REG_IB_STS2, 6, 4)
	s_add_co_i32 s6, s6, s4
	s_cmp_eq_u32 s7, 0
	v_and_b32_e32 v49, 0x3ff, v0
	s_cselect_b32 s12, s5, s6
	v_bfe_u32 v48, v0, 10, 10
	s_load_b64 s[18:19], s[0:1], 0x38
	s_wait_kmcnt 0x0
	s_load_b128 s[4:7], s[2:3], s12 offset:0x0 scale_offset
	s_load_b128 s[8:11], s[0:1], 0x0
	v_lshl_add_u32 v50, v48, 3, v49
	s_wait_xcnt 0x0
	s_load_b64 s[2:3], s[0:1], 0x10
	s_delay_alu instid0(VALU_DEP_1) | instskip(NEXT) | instid1(VALU_DEP_1)
	v_lshlrev_b32_e32 v7, 4, v50
	v_mad_i32_i24 v8, v50, -12, v7
	s_wait_kmcnt 0x0
	s_lshl_b32 s28, s4, 6
	s_ashr_i32 s13, s5, 31
	v_add_nc_u32_e32 v4, s28, v50
	s_clause 0x1
	global_load_b128 v[0:3], v4, s[8:9] scale_offset
	global_load_b32 v6, v4, s[18:19] scale_offset
	s_mov_b32 s12, s5
	s_cmp_lg_u32 s5, 22
	s_mul_u64 s[16:17], s[12:13], 12
	s_cselect_b32 s30, -1, 0
	s_add_nc_u64 s[2:3], s[2:3], s[16:17]
	s_load_b96 s[20:22], s[2:3], 0x0
	s_clause 0x1
	s_load_b128 s[12:15], s[0:1], 0x48
	s_load_b32 s29, s[0:1], 0x58
	s_cmp_ge_i32 s6, s7
	s_wait_kmcnt 0x0
	v_mov_b64_e32 v[4:5], s[20:21]
	s_wait_loadcnt 0x1
	v_dual_add_f32 v3, 0, v3 :: v_dual_add_f32 v2, s22, v2
	s_delay_alu instid0(VALU_DEP_2) | instskip(NEXT) | instid1(VALU_DEP_2)
	v_pk_add_f32 v[0:1], v[4:5], v[0:1]
	v_mul_f32_e32 v3, s15, v3
	ds_store_b128 v7, v[0:3]
	s_wait_loadcnt 0x0
	ds_store_b32 v8, v6 offset:1792
	s_wait_dscnt 0x0
	s_barrier_signal -1
	s_barrier_wait -1
	s_cbranch_scc1 .LBB0_42
; %bb.1:
	v_dual_lshlrev_b32 v51, 4, v49 :: v_dual_lshrrev_b32 v16, 5, v50
	s_clause 0x2
	s_load_b64 s[20:21], s[0:1], 0x40
	s_load_b64 s[22:23], s[0:1], 0x20
	;; [unrolled: 1-line block ×3, first 2 shown]
	v_dual_mov_b32 v29, 0 :: v_dual_bitop2_b32 v0, 31, v50 bitop3:0x40
	v_mad_i32_i24 v52, v49, -12, v51
	v_and_b32_e32 v1, 1, v49
	v_and_b32_e32 v8, 2, v49
	v_mul_i32_i24_e32 v17, -12, v49
	v_lshlrev_b32_e32 v28, 2, v0
	v_mad_u32_u24 v53, v49, 12, v52
	v_dual_mov_b32 v5, v29 :: v_dual_mov_b32 v6, v29
	v_dual_mov_b32 v7, v29 :: v_dual_mov_b32 v30, 0x3a92b707
	s_delay_alu instid0(VALU_DEP_3) | instskip(SKIP_3) | instid1(VALU_DEP_4)
	v_mad_i32_i24 v54, v49, -12, v53
	v_dual_mov_b32 v32, 0x3c739487 :: v_dual_mov_b32 v3, v29
	v_cmp_eq_u32_e64 s3, 0, v1
	v_mov_b32_e32 v0, v29
	v_mad_u32_u24 v55, v49, 12, v54
	v_mov_b32_e32 v1, v29
	s_wait_kmcnt 0x0
	v_add_nc_u64_e32 v[40:41], s[24:25], v[28:29]
	v_dual_lshlrev_b32 v28, 2, v49 :: v_dual_mov_b32 v2, v29
	v_mov_b32_e32 v4, v29
	v_mad_i32_i24 v56, v49, -12, v55
	s_lshl_b32 s33, s4, 3
	s_ashr_i32 s5, s6, 31
	s_mov_b32 s4, s6
	s_mul_f32 s31, s14, s14
	v_mad_u32_u24 v57, v49, 12, v56
	s_lshl_b64 s[26:27], s[4:5], 5
	v_cmp_eq_u32_e64 s4, 0, v8
	v_mov_b64_e32 v[14:15], v[6:7]
	v_add_nc_u64_e32 v[42:43], s[10:11], v[28:29]
	v_mad_i32_i24 v58, v49, -12, v57
	v_cmp_gt_u32_e32 vcc_lo, v48, v49
	v_mov_b64_e32 v[34:35], 0xbc9ded903ded3cb2
	v_mov_b64_e32 v[36:37], 0x3d8eaf3b3f01e2bc
	;; [unrolled: 1-line block ×3, first 2 shown]
	v_mad_u32_u24 v59, v49, 12, v58
	v_mov_b64_e32 v[12:13], v[4:5]
	v_mov_b64_e32 v[10:11], v[2:3]
	;; [unrolled: 1-line block ×3, first 2 shown]
	v_cmp_gt_u32_e64 s2, 3, v49
	v_mad_i32_i24 v61, v49, -12, v59
	v_mbcnt_lo_u32_b32 v60, -1, 0
	s_mul_f32 s41, s14, s31
	s_or_b32 s34, s33, 1
	s_or_b32 s35, s33, 2
	v_mad_u32_u24 v62, v49, 12, v61
	s_or_b32 s36, s33, 3
	s_or_b32 s37, s33, 4
	;; [unrolled: 1-line block ×4, first 2 shown]
	v_mad_i32_i24 v63, v49, -12, v62
	s_or_b32 s40, s33, 7
	s_or_b32 s42, vcc_lo, s30
	s_add_nc_u64 s[14:15], s[22:23], s[26:27]
	s_mov_b32 s43, 0xb2951928
	v_mad_u32_u24 v64, v49, 12, v63
	s_mov_b32 s44, 0x35c55945
	s_mov_b32 s24, s6
	s_delay_alu instid0(VALU_DEP_1) | instskip(NEXT) | instid1(VALU_DEP_1)
	v_mad_i32_i24 v65, v49, -12, v64
	v_mad_u32_u24 v66, v49, 12, v65
	s_delay_alu instid0(VALU_DEP_1)
	v_dual_lshlrev_b32 v28, 3, v16 :: v_dual_add_nc_u32 v67, v66, v17
	v_mov_b64_e32 v[22:23], v[6:7]
	v_mov_b64_e32 v[20:21], v[4:5]
	;; [unrolled: 1-line block ×4, first 2 shown]
	s_branch .LBB0_3
.LBB0_2:                                ;   in Loop: Header=BB0_3 Depth=1
	s_or_b32 exec_lo, exec_lo, s6
	s_add_co_i32 s24, s24, 1
	s_add_nc_u64 s[14:15], s[14:15], 32
	s_cmp_ge_i32 s24, s7
	s_cbranch_scc1 .LBB0_43
.LBB0_3:                                ; =>This Loop Header: Depth=1
                                        ;     Child Loop BB0_7 Depth 2
	s_ashr_i32 s25, s24, 31
	s_mov_b32 s6, exec_lo
	s_lshl_b64 s[26:27], s[24:25], 5
	s_delay_alu instid0(SALU_CYCLE_1)
	s_add_nc_u64 s[26:27], s[22:23], s[26:27]
	global_load_b32 v68, v28, s[26:27] offset:16
	s_wait_loadcnt 0x0
	s_wait_xcnt 0x0
	v_cmpx_ne_u32_e32 0, v68
	s_cbranch_execz .LBB0_2
; %bb.4:                                ;   in Loop: Header=BB0_3 Depth=1
	s_wait_dscnt 0x0
	v_add_nc_u64_e32 v[24:25], s[26:27], v[28:29]
	s_mov_b32 s25, 0
	s_mov_b64 s[26:27], s[14:15]
	global_load_b32 v24, v[24:25], off offset:20
	s_wait_loadcnt 0x0
	s_wait_xcnt 0x0
	v_ashrrev_i32_e32 v25, 31, v24
	s_delay_alu instid0(VALU_DEP_1) | instskip(NEXT) | instid1(VALU_DEP_1)
	v_lshlrev_b64_e32 v[24:25], 7, v[24:25]
	v_add_nc_u64_e32 v[24:25], v[40:41], v[24:25]
	global_load_b32 v69, v[24:25], off
	s_branch .LBB0_7
.LBB0_5:                                ;   in Loop: Header=BB0_7 Depth=2
	s_wait_xcnt 0x0
	s_or_b32 exec_lo, exec_lo, s5
.LBB0_6:                                ;   in Loop: Header=BB0_7 Depth=2
	s_delay_alu instid0(SALU_CYCLE_1)
	s_or_b32 exec_lo, exec_lo, s45
	s_add_co_i32 s25, s25, 8
	s_add_nc_u64 s[26:27], s[26:27], 4
	s_cmp_lg_u32 s25, 32
	s_cbranch_scc0 .LBB0_2
.LBB0_7:                                ;   Parent Loop BB0_3 Depth=1
                                        ; =>  This Inner Loop Header: Depth=2
	s_wait_xcnt 0x0
	v_bfe_u32 v24, v68, s25, 8
	s_mov_b32 s45, exec_lo
	s_delay_alu instid0(VALU_DEP_1)
	v_cmpx_ne_u32_e32 0, v24
	s_cbranch_execz .LBB0_6
; %bb.8:                                ;   in Loop: Header=BB0_7 Depth=2
	s_load_b32 s46, s[26:27], 0x0
	s_lshl_b32 s47, 1, s25
	v_mov_b64_e32 v[44:45], 0
	v_dual_mov_b32 v71, 0 :: v_dual_bitop2_b32 v31, s47, v68 bitop3:0x40
	s_mov_b32 s48, exec_lo
	s_wait_kmcnt 0x0
	v_lshl_add_u32 v70, s46, 3, v48
	s_wait_dscnt 0x0
	global_load_b128 v[24:27], v70, s[8:9] scale_offset
	s_wait_loadcnt 0x1
	global_load_b32 v72, v70, s[18:19] scale_offset
	s_wait_xcnt 0x0
	v_cmpx_ne_u32_e32 0, v31
	s_cbranch_execz .LBB0_12
; %bb.9:                                ;   in Loop: Header=BB0_7 Depth=2
	ds_load_b96 v[74:76], v51
	s_cmp_lg_u32 s33, s46
	v_mov_b32_e32 v71, 0
	s_cselect_b32 s5, -1, 0
	s_delay_alu instid0(SALU_CYCLE_1) | instskip(SKIP_3) | instid1(VALU_DEP_2)
	s_or_b32 s5, s42, s5
	s_wait_loadcnt_dscnt 0x100
	v_pk_add_f32 v[46:47], v[74:75], v[24:25] neg_lo:[0,1] neg_hi:[0,1]
	v_sub_f32_e32 v73, v76, v26
	v_pk_mul_f32 v[44:45], v[46:47], v[46:47]
	s_delay_alu instid0(VALU_DEP_1) | instskip(SKIP_1) | instid1(VALU_DEP_2)
	v_add_f32_e32 v31, v44, v45
	v_mov_b64_e32 v[44:45], 0
	v_fmac_f32_e32 v31, v73, v73
	s_delay_alu instid0(VALU_DEP_1) | instskip(SKIP_1) | instid1(SALU_CYCLE_1)
	v_cmp_gt_f32_e32 vcc_lo, s13, v31
	s_and_b32 s5, vcc_lo, s5
	s_and_saveexec_b32 s49, s5
	s_cbranch_execz .LBB0_11
; %bb.10:                               ;   in Loop: Header=BB0_7 Depth=2
	ds_load_b32 v33, v52 offset:1792
	v_dual_max_num_f32 v31, v31, v31 :: v_dual_bitop2_b32 v82, s47, v69 bitop3:0x40
	s_delay_alu instid0(VALU_DEP_1) | instskip(NEXT) | instid1(VALU_DEP_2)
	v_max_num_f32_e32 v71, 0x34cd15ae, v31
	v_cmp_eq_u32_e64 s5, 0, v82
	s_delay_alu instid0(VALU_DEP_2) | instskip(NEXT) | instid1(VALU_DEP_1)
	v_mul_f32_e32 v74, s31, v71
	v_mul_f32_e32 v76, v74, v74
	s_wait_loadcnt_dscnt 0x0
	v_mad_u32 v33, v33, s12, v72
	s_delay_alu instid0(VALU_DEP_2) | instskip(NEXT) | instid1(VALU_DEP_1)
	v_fmaak_f32 v31, s43, v76, 0xb85ffb93
	v_pk_fma_f32 v[78:79], v[76:77], v[30:31], v[34:35] op_sel_hi:[0,1,1]
	global_load_b64 v[44:45], v33, s[20:21] scale_offset
	s_wait_xcnt 0x0
	v_fmaak_f32 v33, s44, v76, 0x3a83ca0c
	s_delay_alu instid0(VALU_DEP_1) | instskip(SKIP_3) | instid1(VALU_DEP_2)
	v_pk_fma_f32 v[80:81], v[76:77], v[32:33], v[36:37] op_sel_hi:[0,1,1]
	v_pk_fma_f32 v[76:77], v[76:77], v[78:79], v[38:39] op_sel_hi:[0,1,1]
	v_mov_b32_e32 v78, v27
	v_rsq_f32_e32 v79, v71
	v_pk_fma_f32 v[74:75], v[74:75], v[80:81], v[76:77] op_sel_hi:[0,1,1]
	ds_load_b32 v76, v51 offset:12
	v_mov_b32_e32 v82, v79
	v_div_scale_f32 v31, null, v74, v74, 1.0
	v_div_scale_f32 v80, vcc_lo, 1.0, v74, 1.0
	s_delay_alu instid0(VALU_DEP_2) | instskip(SKIP_1) | instid1(TRANS32_DEP_1)
	v_rcp_f32_e32 v33, v31
	v_nop
	v_fma_f32 v77, -v31, v33, 1.0
	s_delay_alu instid0(VALU_DEP_1) | instskip(NEXT) | instid1(VALU_DEP_1)
	v_dual_fmac_f32 v33, v77, v33 :: v_dual_mov_b32 v77, v79
	v_mul_f32_e32 v71, v80, v33
	s_wait_dscnt 0x0
	s_delay_alu instid0(VALU_DEP_2) | instskip(NEXT) | instid1(VALU_DEP_2)
	v_pk_mul_f32 v[76:77], v[78:79], v[76:77]
	v_fma_f32 v81, -v31, v71, v80
	s_delay_alu instid0(VALU_DEP_1) | instskip(NEXT) | instid1(VALU_DEP_1)
	v_fmac_f32_e32 v71, v81, v33
	v_fma_f32 v31, -v31, v71, v80
	s_delay_alu instid0(VALU_DEP_4) | instskip(SKIP_1) | instid1(VALU_DEP_1)
	v_pk_mul_f32 v[80:81], v[76:77], v[76:77]
	v_cndmask_b32_e64 v80, 1.0, 0, s5
	v_mov_b32_e32 v83, v80
	s_delay_alu instid0(VALU_DEP_4) | instskip(NEXT) | instid1(VALU_DEP_4)
	v_div_fmas_f32 v31, v31, v33, v71
	v_pk_mul_f32 v[78:79], v[80:81], v[76:77] op_sel:[0,1]
	s_delay_alu instid0(VALU_DEP_2) | instskip(NEXT) | instid1(VALU_DEP_1)
	v_div_fixup_f32 v31, v31, v74, 1.0
	v_mul_f32_e32 v31, v31, v75
	s_delay_alu instid0(VALU_DEP_3) | instskip(SKIP_1) | instid1(VALU_DEP_1)
	v_pk_mul_f32 v[74:75], v[82:83], v[78:79]
	s_wait_loadcnt 0x0
	v_dual_mul_f32 v80, s41, v31 :: v_dual_fma_f32 v81, v75, v45, -v44
	s_delay_alu instid0(VALU_DEP_1) | instskip(SKIP_1) | instid1(VALU_DEP_2)
	v_pk_mul_f32 v[44:45], v[74:75], v[80:81]
	v_pk_fma_f32 v[74:75], v[82:83], v[78:79], v[80:81]
	v_dual_mov_b32 v75, v45 :: v_dual_mul_f32 v44, v45, v77
	s_delay_alu instid0(VALU_DEP_1) | instskip(NEXT) | instid1(VALU_DEP_1)
	v_pk_fma_f32 v[74:75], v[74:75], v[76:77], v[44:45] op_sel_hi:[1,1,0]
	v_pk_mul_f32 v[76:77], v[46:47], v[74:75] op_sel_hi:[1,0]
	v_pk_fma_f32 v[44:45], v[46:47], v[74:75], 0 op_sel_hi:[1,0,0] neg_lo:[1,0,0] neg_hi:[1,0,0]
	v_fma_f32 v71, -v73, v74, 0
	s_delay_alu instid0(VALU_DEP_3) | instskip(NEXT) | instid1(VALU_DEP_4)
	v_dual_fma_f32 v16, v73, v74, v16 :: v_dual_add_f32 v8, v8, v77
	v_add_f32_e32 v0, v0, v76
.LBB0_11:                               ;   in Loop: Header=BB0_7 Depth=2
	s_or_b32 exec_lo, exec_lo, s49
.LBB0_12:                               ;   in Loop: Header=BB0_7 Depth=2
	s_delay_alu instid0(SALU_CYCLE_1) | instskip(SKIP_3) | instid1(VALU_DEP_1)
	s_or_b32 exec_lo, exec_lo, s48
	s_lshl_b32 s5, s47, 1
	s_mov_b32 s48, exec_lo
	v_and_b32_e32 v31, s5, v68
	v_cmpx_ne_u32_e32 0, v31
	s_cbranch_execz .LBB0_16
; %bb.13:                               ;   in Loop: Header=BB0_7 Depth=2
	ds_load_b96 v[74:76], v53 offset:128
	s_cmp_lg_u32 s34, s46
	s_cselect_b32 s49, -1, 0
	s_delay_alu instid0(SALU_CYCLE_1) | instskip(SKIP_2) | instid1(VALU_DEP_1)
	s_or_b32 s49, s42, s49
	s_wait_loadcnt_dscnt 0x100
	v_pk_add_f32 v[46:47], v[74:75], v[24:25] neg_lo:[0,1] neg_hi:[0,1]
	v_pk_mul_f32 v[74:75], v[46:47], v[46:47]
	s_delay_alu instid0(VALU_DEP_1) | instskip(NEXT) | instid1(VALU_DEP_1)
	v_dual_sub_f32 v73, v76, v26 :: v_dual_add_f32 v31, v74, v75
	v_fmac_f32_e32 v31, v73, v73
	s_delay_alu instid0(VALU_DEP_1) | instskip(SKIP_1) | instid1(SALU_CYCLE_1)
	v_cmp_gt_f32_e32 vcc_lo, s13, v31
	s_and_b32 s50, vcc_lo, s49
	s_and_saveexec_b32 s49, s50
	s_cbranch_execz .LBB0_15
; %bb.14:                               ;   in Loop: Header=BB0_7 Depth=2
	ds_load_b32 v33, v54 offset:1824
	v_max_num_f32_e32 v31, v31, v31
	s_delay_alu instid0(VALU_DEP_1) | instskip(NEXT) | instid1(VALU_DEP_1)
	v_max_num_f32_e32 v84, 0x34cd15ae, v31
	v_mul_f32_e32 v76, s31, v84
	s_delay_alu instid0(VALU_DEP_1) | instskip(SKIP_2) | instid1(VALU_DEP_2)
	v_mul_f32_e32 v78, v76, v76
	s_wait_loadcnt_dscnt 0x0
	v_mad_u32 v33, v33, s12, v72
	v_fmaak_f32 v31, s43, v78, 0xb85ffb93
	s_delay_alu instid0(VALU_DEP_1) | instskip(SKIP_3) | instid1(VALU_DEP_1)
	v_pk_fma_f32 v[80:81], v[78:79], v[30:31], v[34:35] op_sel_hi:[0,1,1]
	global_load_b64 v[74:75], v33, s[20:21] scale_offset
	s_wait_xcnt 0x0
	v_fmaak_f32 v33, s44, v78, 0x3a83ca0c
	v_pk_fma_f32 v[82:83], v[78:79], v[32:33], v[36:37] op_sel_hi:[0,1,1]
	v_pk_fma_f32 v[78:79], v[78:79], v[80:81], v[38:39] op_sel_hi:[0,1,1]
	v_mov_b32_e32 v80, v27
	s_delay_alu instid0(VALU_DEP_2) | instskip(SKIP_3) | instid1(VALU_DEP_2)
	v_pk_fma_f32 v[76:77], v[76:77], v[82:83], v[78:79] op_sel_hi:[0,1,1]
	ds_load_b32 v78, v53 offset:140
	v_div_scale_f32 v31, null, v76, v76, 1.0
	v_div_scale_f32 v85, vcc_lo, 1.0, v76, 1.0
	v_rcp_f32_e32 v33, v31
	v_nop
	s_delay_alu instid0(TRANS32_DEP_1) | instskip(NEXT) | instid1(VALU_DEP_1)
	v_fma_f32 v79, -v31, v33, 1.0
	v_fmac_f32_e32 v33, v79, v33
	v_rsq_f32_e32 v81, v84
	v_nop
	s_delay_alu instid0(VALU_DEP_2)
	v_mul_f32_e32 v84, v85, v33
	s_delay_alu instid0(TRANS32_DEP_1) | instid1(VALU_DEP_1)
	v_dual_mov_b32 v79, v81 :: v_dual_fma_f32 v82, -v31, v84, v85
	s_wait_dscnt 0x0
	s_delay_alu instid0(VALU_DEP_1) | instskip(NEXT) | instid1(VALU_DEP_2)
	v_pk_mul_f32 v[78:79], v[80:81], v[78:79]
	v_fmac_f32_e32 v84, v82, v33
	v_and_b32_e32 v80, s5, v69
	s_delay_alu instid0(VALU_DEP_3) | instskip(NEXT) | instid1(VALU_DEP_3)
	v_pk_mul_f32 v[82:83], v[78:79], v[78:79]
	v_fma_f32 v31, -v31, v84, v85
	s_delay_alu instid0(VALU_DEP_3) | instskip(NEXT) | instid1(VALU_DEP_1)
	v_cmp_eq_u32_e64 s5, 0, v80
	v_cndmask_b32_e64 v82, 1.0, 0, s5
	s_delay_alu instid0(VALU_DEP_1) | instskip(NEXT) | instid1(VALU_DEP_4)
	v_mov_b32_e32 v85, v82
	v_div_fmas_f32 v31, v31, v33, v84
	v_mov_b32_e32 v84, v81
	v_pk_mul_f32 v[80:81], v[82:83], v[78:79] op_sel:[0,1]
	s_delay_alu instid0(VALU_DEP_3) | instskip(NEXT) | instid1(VALU_DEP_1)
	v_div_fixup_f32 v31, v31, v76, 1.0
	v_mul_f32_e32 v31, v31, v77
	s_delay_alu instid0(VALU_DEP_3) | instskip(SKIP_1) | instid1(VALU_DEP_1)
	v_pk_mul_f32 v[76:77], v[84:85], v[80:81]
	s_wait_loadcnt 0x0
	v_fma_f32 v83, v77, v75, -v74
	s_delay_alu instid0(VALU_DEP_3) | instskip(NEXT) | instid1(VALU_DEP_1)
	v_mul_f32_e32 v82, s41, v31
	v_pk_mul_f32 v[74:75], v[76:77], v[82:83]
	v_pk_fma_f32 v[76:77], v[84:85], v[80:81], v[82:83]
	s_delay_alu instid0(VALU_DEP_2) | instskip(NEXT) | instid1(VALU_DEP_1)
	v_dual_mov_b32 v77, v75 :: v_dual_mul_f32 v74, v75, v79
	v_pk_fma_f32 v[74:75], v[76:77], v[78:79], v[74:75] op_sel_hi:[1,1,0]
	s_delay_alu instid0(VALU_DEP_1) | instskip(SKIP_2) | instid1(VALU_DEP_3)
	v_pk_mul_f32 v[76:77], v[46:47], v[74:75] op_sel_hi:[1,0]
	v_pk_fma_f32 v[44:45], v[46:47], v[74:75], v[44:45] op_sel_hi:[1,0,1] neg_lo:[1,0,0] neg_hi:[1,0,0]
	v_dual_fma_f32 v71, -v73, v74, v71 :: v_dual_fma_f32 v17, v73, v74, v17
	v_add_f32_e32 v1, v1, v76
	s_delay_alu instid0(VALU_DEP_4)
	v_add_f32_e32 v9, v9, v77
.LBB0_15:                               ;   in Loop: Header=BB0_7 Depth=2
	s_or_b32 exec_lo, exec_lo, s49
.LBB0_16:                               ;   in Loop: Header=BB0_7 Depth=2
	s_delay_alu instid0(SALU_CYCLE_1) | instskip(SKIP_3) | instid1(VALU_DEP_1)
	s_or_b32 exec_lo, exec_lo, s48
	s_lshl_b32 s5, s47, 2
	s_mov_b32 s48, exec_lo
	v_and_b32_e32 v31, s5, v68
	v_cmpx_ne_u32_e32 0, v31
	s_cbranch_execz .LBB0_20
; %bb.17:                               ;   in Loop: Header=BB0_7 Depth=2
	ds_load_b96 v[74:76], v55 offset:256
	s_cmp_lg_u32 s35, s46
	s_cselect_b32 s49, -1, 0
	s_delay_alu instid0(SALU_CYCLE_1) | instskip(SKIP_2) | instid1(VALU_DEP_1)
	s_or_b32 s49, s42, s49
	s_wait_loadcnt_dscnt 0x100
	v_pk_add_f32 v[46:47], v[74:75], v[24:25] neg_lo:[0,1] neg_hi:[0,1]
	v_pk_mul_f32 v[74:75], v[46:47], v[46:47]
	s_delay_alu instid0(VALU_DEP_1) | instskip(NEXT) | instid1(VALU_DEP_1)
	v_dual_sub_f32 v73, v76, v26 :: v_dual_add_f32 v31, v74, v75
	v_fmac_f32_e32 v31, v73, v73
	s_delay_alu instid0(VALU_DEP_1) | instskip(SKIP_1) | instid1(SALU_CYCLE_1)
	v_cmp_gt_f32_e32 vcc_lo, s13, v31
	s_and_b32 s50, vcc_lo, s49
	s_and_saveexec_b32 s49, s50
	s_cbranch_execz .LBB0_19
; %bb.18:                               ;   in Loop: Header=BB0_7 Depth=2
	ds_load_b32 v33, v56 offset:1856
	v_max_num_f32_e32 v31, v31, v31
	s_delay_alu instid0(VALU_DEP_1) | instskip(NEXT) | instid1(VALU_DEP_1)
	v_max_num_f32_e32 v84, 0x34cd15ae, v31
	v_mul_f32_e32 v76, s31, v84
	s_delay_alu instid0(VALU_DEP_1) | instskip(SKIP_2) | instid1(VALU_DEP_2)
	v_mul_f32_e32 v78, v76, v76
	s_wait_loadcnt_dscnt 0x0
	v_mad_u32 v33, v33, s12, v72
	v_fmaak_f32 v31, s43, v78, 0xb85ffb93
	s_delay_alu instid0(VALU_DEP_1) | instskip(SKIP_3) | instid1(VALU_DEP_1)
	v_pk_fma_f32 v[80:81], v[78:79], v[30:31], v[34:35] op_sel_hi:[0,1,1]
	global_load_b64 v[74:75], v33, s[20:21] scale_offset
	s_wait_xcnt 0x0
	v_fmaak_f32 v33, s44, v78, 0x3a83ca0c
	v_pk_fma_f32 v[82:83], v[78:79], v[32:33], v[36:37] op_sel_hi:[0,1,1]
	v_pk_fma_f32 v[78:79], v[78:79], v[80:81], v[38:39] op_sel_hi:[0,1,1]
	v_mov_b32_e32 v80, v27
	s_delay_alu instid0(VALU_DEP_2) | instskip(SKIP_3) | instid1(VALU_DEP_2)
	v_pk_fma_f32 v[76:77], v[76:77], v[82:83], v[78:79] op_sel_hi:[0,1,1]
	ds_load_b32 v78, v55 offset:268
	v_div_scale_f32 v31, null, v76, v76, 1.0
	v_div_scale_f32 v85, vcc_lo, 1.0, v76, 1.0
	v_rcp_f32_e32 v33, v31
	v_nop
	s_delay_alu instid0(TRANS32_DEP_1) | instskip(NEXT) | instid1(VALU_DEP_1)
	v_fma_f32 v79, -v31, v33, 1.0
	v_fmac_f32_e32 v33, v79, v33
	v_rsq_f32_e32 v81, v84
	v_nop
	s_delay_alu instid0(VALU_DEP_2)
	v_mul_f32_e32 v84, v85, v33
	s_delay_alu instid0(TRANS32_DEP_1) | instid1(VALU_DEP_1)
	v_dual_mov_b32 v79, v81 :: v_dual_fma_f32 v82, -v31, v84, v85
	s_wait_dscnt 0x0
	s_delay_alu instid0(VALU_DEP_1) | instskip(NEXT) | instid1(VALU_DEP_2)
	v_pk_mul_f32 v[78:79], v[80:81], v[78:79]
	v_fmac_f32_e32 v84, v82, v33
	v_and_b32_e32 v80, s5, v69
	s_delay_alu instid0(VALU_DEP_3) | instskip(NEXT) | instid1(VALU_DEP_3)
	v_pk_mul_f32 v[82:83], v[78:79], v[78:79]
	v_fma_f32 v31, -v31, v84, v85
	s_delay_alu instid0(VALU_DEP_3) | instskip(NEXT) | instid1(VALU_DEP_1)
	v_cmp_eq_u32_e64 s5, 0, v80
	v_cndmask_b32_e64 v82, 1.0, 0, s5
	s_delay_alu instid0(VALU_DEP_1) | instskip(NEXT) | instid1(VALU_DEP_4)
	v_mov_b32_e32 v85, v82
	v_div_fmas_f32 v31, v31, v33, v84
	v_mov_b32_e32 v84, v81
	v_pk_mul_f32 v[80:81], v[82:83], v[78:79] op_sel:[0,1]
	s_delay_alu instid0(VALU_DEP_3) | instskip(NEXT) | instid1(VALU_DEP_1)
	v_div_fixup_f32 v31, v31, v76, 1.0
	v_mul_f32_e32 v31, v31, v77
	s_delay_alu instid0(VALU_DEP_3) | instskip(SKIP_1) | instid1(VALU_DEP_1)
	v_pk_mul_f32 v[76:77], v[84:85], v[80:81]
	s_wait_loadcnt 0x0
	v_fma_f32 v83, v77, v75, -v74
	s_delay_alu instid0(VALU_DEP_3) | instskip(NEXT) | instid1(VALU_DEP_1)
	v_mul_f32_e32 v82, s41, v31
	v_pk_mul_f32 v[74:75], v[76:77], v[82:83]
	v_pk_fma_f32 v[76:77], v[84:85], v[80:81], v[82:83]
	s_delay_alu instid0(VALU_DEP_2) | instskip(NEXT) | instid1(VALU_DEP_1)
	v_dual_mov_b32 v77, v75 :: v_dual_mul_f32 v74, v75, v79
	v_pk_fma_f32 v[74:75], v[76:77], v[78:79], v[74:75] op_sel_hi:[1,1,0]
	s_delay_alu instid0(VALU_DEP_1) | instskip(SKIP_2) | instid1(VALU_DEP_3)
	v_pk_mul_f32 v[76:77], v[46:47], v[74:75] op_sel_hi:[1,0]
	v_pk_fma_f32 v[44:45], v[46:47], v[74:75], v[44:45] op_sel_hi:[1,0,1] neg_lo:[1,0,0] neg_hi:[1,0,0]
	v_dual_fma_f32 v71, -v73, v74, v71 :: v_dual_fma_f32 v18, v73, v74, v18
	v_add_f32_e32 v2, v2, v76
	s_delay_alu instid0(VALU_DEP_4)
	v_add_f32_e32 v10, v10, v77
.LBB0_19:                               ;   in Loop: Header=BB0_7 Depth=2
	s_or_b32 exec_lo, exec_lo, s49
.LBB0_20:                               ;   in Loop: Header=BB0_7 Depth=2
	s_delay_alu instid0(SALU_CYCLE_1) | instskip(SKIP_3) | instid1(VALU_DEP_1)
	s_or_b32 exec_lo, exec_lo, s48
	s_lshl_b32 s5, s47, 3
	s_mov_b32 s48, exec_lo
	v_and_b32_e32 v31, s5, v68
	v_cmpx_ne_u32_e32 0, v31
	s_cbranch_execz .LBB0_24
; %bb.21:                               ;   in Loop: Header=BB0_7 Depth=2
	ds_load_b96 v[74:76], v57 offset:384
	s_cmp_lg_u32 s36, s46
	s_cselect_b32 s49, -1, 0
	s_delay_alu instid0(SALU_CYCLE_1) | instskip(SKIP_2) | instid1(VALU_DEP_1)
	s_or_b32 s49, s42, s49
	s_wait_loadcnt_dscnt 0x100
	v_pk_add_f32 v[46:47], v[74:75], v[24:25] neg_lo:[0,1] neg_hi:[0,1]
	v_pk_mul_f32 v[74:75], v[46:47], v[46:47]
	s_delay_alu instid0(VALU_DEP_1) | instskip(NEXT) | instid1(VALU_DEP_1)
	v_dual_sub_f32 v73, v76, v26 :: v_dual_add_f32 v31, v74, v75
	v_fmac_f32_e32 v31, v73, v73
	s_delay_alu instid0(VALU_DEP_1) | instskip(SKIP_1) | instid1(SALU_CYCLE_1)
	v_cmp_gt_f32_e32 vcc_lo, s13, v31
	s_and_b32 s50, vcc_lo, s49
	s_and_saveexec_b32 s49, s50
	s_cbranch_execz .LBB0_23
; %bb.22:                               ;   in Loop: Header=BB0_7 Depth=2
	ds_load_b32 v33, v58 offset:1888
	v_max_num_f32_e32 v31, v31, v31
	s_delay_alu instid0(VALU_DEP_1) | instskip(NEXT) | instid1(VALU_DEP_1)
	v_max_num_f32_e32 v84, 0x34cd15ae, v31
	v_mul_f32_e32 v76, s31, v84
	s_delay_alu instid0(VALU_DEP_1) | instskip(SKIP_2) | instid1(VALU_DEP_2)
	v_mul_f32_e32 v78, v76, v76
	s_wait_loadcnt_dscnt 0x0
	v_mad_u32 v33, v33, s12, v72
	v_fmaak_f32 v31, s43, v78, 0xb85ffb93
	s_delay_alu instid0(VALU_DEP_1) | instskip(SKIP_3) | instid1(VALU_DEP_1)
	v_pk_fma_f32 v[80:81], v[78:79], v[30:31], v[34:35] op_sel_hi:[0,1,1]
	global_load_b64 v[74:75], v33, s[20:21] scale_offset
	s_wait_xcnt 0x0
	v_fmaak_f32 v33, s44, v78, 0x3a83ca0c
	v_pk_fma_f32 v[82:83], v[78:79], v[32:33], v[36:37] op_sel_hi:[0,1,1]
	v_pk_fma_f32 v[78:79], v[78:79], v[80:81], v[38:39] op_sel_hi:[0,1,1]
	v_mov_b32_e32 v80, v27
	s_delay_alu instid0(VALU_DEP_2) | instskip(SKIP_3) | instid1(VALU_DEP_2)
	v_pk_fma_f32 v[76:77], v[76:77], v[82:83], v[78:79] op_sel_hi:[0,1,1]
	ds_load_b32 v78, v57 offset:396
	v_div_scale_f32 v31, null, v76, v76, 1.0
	v_div_scale_f32 v85, vcc_lo, 1.0, v76, 1.0
	v_rcp_f32_e32 v33, v31
	v_nop
	s_delay_alu instid0(TRANS32_DEP_1) | instskip(NEXT) | instid1(VALU_DEP_1)
	v_fma_f32 v79, -v31, v33, 1.0
	v_fmac_f32_e32 v33, v79, v33
	v_rsq_f32_e32 v81, v84
	v_nop
	s_delay_alu instid0(VALU_DEP_2)
	v_mul_f32_e32 v84, v85, v33
	s_delay_alu instid0(TRANS32_DEP_1) | instid1(VALU_DEP_1)
	v_dual_mov_b32 v79, v81 :: v_dual_fma_f32 v82, -v31, v84, v85
	s_wait_dscnt 0x0
	s_delay_alu instid0(VALU_DEP_1) | instskip(NEXT) | instid1(VALU_DEP_2)
	v_pk_mul_f32 v[78:79], v[80:81], v[78:79]
	v_fmac_f32_e32 v84, v82, v33
	v_and_b32_e32 v80, s5, v69
	s_delay_alu instid0(VALU_DEP_3) | instskip(NEXT) | instid1(VALU_DEP_3)
	v_pk_mul_f32 v[82:83], v[78:79], v[78:79]
	v_fma_f32 v31, -v31, v84, v85
	s_delay_alu instid0(VALU_DEP_3) | instskip(NEXT) | instid1(VALU_DEP_1)
	v_cmp_eq_u32_e64 s5, 0, v80
	v_cndmask_b32_e64 v82, 1.0, 0, s5
	s_delay_alu instid0(VALU_DEP_1) | instskip(NEXT) | instid1(VALU_DEP_4)
	v_mov_b32_e32 v85, v82
	v_div_fmas_f32 v31, v31, v33, v84
	v_mov_b32_e32 v84, v81
	v_pk_mul_f32 v[80:81], v[82:83], v[78:79] op_sel:[0,1]
	s_delay_alu instid0(VALU_DEP_3) | instskip(NEXT) | instid1(VALU_DEP_1)
	v_div_fixup_f32 v31, v31, v76, 1.0
	v_mul_f32_e32 v31, v31, v77
	s_delay_alu instid0(VALU_DEP_3) | instskip(SKIP_1) | instid1(VALU_DEP_1)
	v_pk_mul_f32 v[76:77], v[84:85], v[80:81]
	s_wait_loadcnt 0x0
	v_fma_f32 v83, v77, v75, -v74
	s_delay_alu instid0(VALU_DEP_3) | instskip(NEXT) | instid1(VALU_DEP_1)
	v_mul_f32_e32 v82, s41, v31
	v_pk_mul_f32 v[74:75], v[76:77], v[82:83]
	v_pk_fma_f32 v[76:77], v[84:85], v[80:81], v[82:83]
	s_delay_alu instid0(VALU_DEP_2) | instskip(NEXT) | instid1(VALU_DEP_1)
	v_dual_mov_b32 v77, v75 :: v_dual_mul_f32 v74, v75, v79
	v_pk_fma_f32 v[74:75], v[76:77], v[78:79], v[74:75] op_sel_hi:[1,1,0]
	s_delay_alu instid0(VALU_DEP_1) | instskip(SKIP_2) | instid1(VALU_DEP_3)
	v_pk_mul_f32 v[76:77], v[46:47], v[74:75] op_sel_hi:[1,0]
	v_pk_fma_f32 v[44:45], v[46:47], v[74:75], v[44:45] op_sel_hi:[1,0,1] neg_lo:[1,0,0] neg_hi:[1,0,0]
	v_fma_f32 v71, -v73, v74, v71
	v_dual_fma_f32 v19, v73, v74, v19 :: v_dual_add_f32 v11, v11, v77
	s_delay_alu instid0(VALU_DEP_4)
	v_add_f32_e32 v3, v3, v76
.LBB0_23:                               ;   in Loop: Header=BB0_7 Depth=2
	s_or_b32 exec_lo, exec_lo, s49
.LBB0_24:                               ;   in Loop: Header=BB0_7 Depth=2
	s_delay_alu instid0(SALU_CYCLE_1) | instskip(SKIP_3) | instid1(VALU_DEP_1)
	s_or_b32 exec_lo, exec_lo, s48
	s_lshl_b32 s5, s47, 4
	s_mov_b32 s48, exec_lo
	v_and_b32_e32 v31, s5, v68
	v_cmpx_ne_u32_e32 0, v31
	s_cbranch_execz .LBB0_28
; %bb.25:                               ;   in Loop: Header=BB0_7 Depth=2
	ds_load_b96 v[74:76], v59 offset:512
	s_cmp_lg_u32 s37, s46
	s_cselect_b32 s49, -1, 0
	s_delay_alu instid0(SALU_CYCLE_1) | instskip(SKIP_2) | instid1(VALU_DEP_1)
	s_or_b32 s49, s42, s49
	s_wait_loadcnt_dscnt 0x100
	v_pk_add_f32 v[46:47], v[74:75], v[24:25] neg_lo:[0,1] neg_hi:[0,1]
	v_pk_mul_f32 v[74:75], v[46:47], v[46:47]
	s_delay_alu instid0(VALU_DEP_1) | instskip(NEXT) | instid1(VALU_DEP_1)
	v_dual_sub_f32 v73, v76, v26 :: v_dual_add_f32 v31, v74, v75
	v_fmac_f32_e32 v31, v73, v73
	s_delay_alu instid0(VALU_DEP_1) | instskip(SKIP_1) | instid1(SALU_CYCLE_1)
	v_cmp_gt_f32_e32 vcc_lo, s13, v31
	s_and_b32 s50, vcc_lo, s49
	s_and_saveexec_b32 s49, s50
	s_cbranch_execz .LBB0_27
; %bb.26:                               ;   in Loop: Header=BB0_7 Depth=2
	ds_load_b32 v33, v61 offset:1920
	v_max_num_f32_e32 v31, v31, v31
	s_delay_alu instid0(VALU_DEP_1) | instskip(NEXT) | instid1(VALU_DEP_1)
	v_max_num_f32_e32 v84, 0x34cd15ae, v31
	v_mul_f32_e32 v76, s31, v84
	s_delay_alu instid0(VALU_DEP_1) | instskip(SKIP_2) | instid1(VALU_DEP_2)
	v_mul_f32_e32 v78, v76, v76
	s_wait_loadcnt_dscnt 0x0
	v_mad_u32 v33, v33, s12, v72
	v_fmaak_f32 v31, s43, v78, 0xb85ffb93
	s_delay_alu instid0(VALU_DEP_1) | instskip(SKIP_3) | instid1(VALU_DEP_1)
	v_pk_fma_f32 v[80:81], v[78:79], v[30:31], v[34:35] op_sel_hi:[0,1,1]
	global_load_b64 v[74:75], v33, s[20:21] scale_offset
	s_wait_xcnt 0x0
	v_fmaak_f32 v33, s44, v78, 0x3a83ca0c
	v_pk_fma_f32 v[82:83], v[78:79], v[32:33], v[36:37] op_sel_hi:[0,1,1]
	v_pk_fma_f32 v[78:79], v[78:79], v[80:81], v[38:39] op_sel_hi:[0,1,1]
	v_mov_b32_e32 v80, v27
	s_delay_alu instid0(VALU_DEP_2) | instskip(SKIP_3) | instid1(VALU_DEP_2)
	v_pk_fma_f32 v[76:77], v[76:77], v[82:83], v[78:79] op_sel_hi:[0,1,1]
	ds_load_b32 v78, v59 offset:524
	v_div_scale_f32 v31, null, v76, v76, 1.0
	v_div_scale_f32 v85, vcc_lo, 1.0, v76, 1.0
	v_rcp_f32_e32 v33, v31
	v_nop
	s_delay_alu instid0(TRANS32_DEP_1) | instskip(NEXT) | instid1(VALU_DEP_1)
	v_fma_f32 v79, -v31, v33, 1.0
	v_fmac_f32_e32 v33, v79, v33
	v_rsq_f32_e32 v81, v84
	v_nop
	s_delay_alu instid0(VALU_DEP_2)
	v_mul_f32_e32 v84, v85, v33
	s_delay_alu instid0(TRANS32_DEP_1) | instid1(VALU_DEP_1)
	v_dual_mov_b32 v79, v81 :: v_dual_fma_f32 v82, -v31, v84, v85
	s_wait_dscnt 0x0
	s_delay_alu instid0(VALU_DEP_1) | instskip(NEXT) | instid1(VALU_DEP_2)
	v_pk_mul_f32 v[78:79], v[80:81], v[78:79]
	v_fmac_f32_e32 v84, v82, v33
	v_and_b32_e32 v80, s5, v69
	s_delay_alu instid0(VALU_DEP_3) | instskip(NEXT) | instid1(VALU_DEP_3)
	v_pk_mul_f32 v[82:83], v[78:79], v[78:79]
	v_fma_f32 v31, -v31, v84, v85
	s_delay_alu instid0(VALU_DEP_3) | instskip(NEXT) | instid1(VALU_DEP_1)
	v_cmp_eq_u32_e64 s5, 0, v80
	v_cndmask_b32_e64 v82, 1.0, 0, s5
	s_delay_alu instid0(VALU_DEP_1) | instskip(NEXT) | instid1(VALU_DEP_4)
	v_mov_b32_e32 v85, v82
	v_div_fmas_f32 v31, v31, v33, v84
	v_mov_b32_e32 v84, v81
	v_pk_mul_f32 v[80:81], v[82:83], v[78:79] op_sel:[0,1]
	s_delay_alu instid0(VALU_DEP_3) | instskip(NEXT) | instid1(VALU_DEP_1)
	v_div_fixup_f32 v31, v31, v76, 1.0
	v_mul_f32_e32 v31, v31, v77
	s_delay_alu instid0(VALU_DEP_3) | instskip(SKIP_1) | instid1(VALU_DEP_1)
	v_pk_mul_f32 v[76:77], v[84:85], v[80:81]
	s_wait_loadcnt 0x0
	v_fma_f32 v83, v77, v75, -v74
	s_delay_alu instid0(VALU_DEP_3) | instskip(NEXT) | instid1(VALU_DEP_1)
	v_mul_f32_e32 v82, s41, v31
	v_pk_mul_f32 v[74:75], v[76:77], v[82:83]
	v_pk_fma_f32 v[76:77], v[84:85], v[80:81], v[82:83]
	s_delay_alu instid0(VALU_DEP_2) | instskip(NEXT) | instid1(VALU_DEP_1)
	v_dual_mov_b32 v77, v75 :: v_dual_mul_f32 v74, v75, v79
	v_pk_fma_f32 v[74:75], v[76:77], v[78:79], v[74:75] op_sel_hi:[1,1,0]
	s_delay_alu instid0(VALU_DEP_1) | instskip(SKIP_2) | instid1(VALU_DEP_3)
	v_pk_mul_f32 v[76:77], v[46:47], v[74:75] op_sel_hi:[1,0]
	v_pk_fma_f32 v[44:45], v[46:47], v[74:75], v[44:45] op_sel_hi:[1,0,1] neg_lo:[1,0,0] neg_hi:[1,0,0]
	v_dual_fma_f32 v71, -v73, v74, v71 :: v_dual_fma_f32 v20, v73, v74, v20
	v_add_f32_e32 v4, v4, v76
	s_delay_alu instid0(VALU_DEP_4)
	v_add_f32_e32 v12, v12, v77
.LBB0_27:                               ;   in Loop: Header=BB0_7 Depth=2
	s_or_b32 exec_lo, exec_lo, s49
.LBB0_28:                               ;   in Loop: Header=BB0_7 Depth=2
	s_delay_alu instid0(SALU_CYCLE_1) | instskip(SKIP_3) | instid1(VALU_DEP_1)
	s_or_b32 exec_lo, exec_lo, s48
	s_lshl_b32 s5, s47, 5
	s_mov_b32 s48, exec_lo
	v_and_b32_e32 v31, s5, v68
	v_cmpx_ne_u32_e32 0, v31
	s_cbranch_execz .LBB0_32
; %bb.29:                               ;   in Loop: Header=BB0_7 Depth=2
	ds_load_b96 v[74:76], v62 offset:640
	s_cmp_lg_u32 s38, s46
	s_cselect_b32 s49, -1, 0
	s_delay_alu instid0(SALU_CYCLE_1) | instskip(SKIP_2) | instid1(VALU_DEP_1)
	s_or_b32 s49, s42, s49
	s_wait_loadcnt_dscnt 0x100
	v_pk_add_f32 v[46:47], v[74:75], v[24:25] neg_lo:[0,1] neg_hi:[0,1]
	v_pk_mul_f32 v[74:75], v[46:47], v[46:47]
	s_delay_alu instid0(VALU_DEP_1) | instskip(NEXT) | instid1(VALU_DEP_1)
	v_dual_sub_f32 v73, v76, v26 :: v_dual_add_f32 v31, v74, v75
	v_fmac_f32_e32 v31, v73, v73
	s_delay_alu instid0(VALU_DEP_1) | instskip(SKIP_1) | instid1(SALU_CYCLE_1)
	v_cmp_gt_f32_e32 vcc_lo, s13, v31
	s_and_b32 s50, vcc_lo, s49
	s_and_saveexec_b32 s49, s50
	s_cbranch_execz .LBB0_31
; %bb.30:                               ;   in Loop: Header=BB0_7 Depth=2
	ds_load_b32 v33, v63 offset:1952
	v_max_num_f32_e32 v31, v31, v31
	s_delay_alu instid0(VALU_DEP_1) | instskip(NEXT) | instid1(VALU_DEP_1)
	v_max_num_f32_e32 v84, 0x34cd15ae, v31
	v_mul_f32_e32 v76, s31, v84
	s_delay_alu instid0(VALU_DEP_1) | instskip(SKIP_2) | instid1(VALU_DEP_2)
	v_mul_f32_e32 v78, v76, v76
	s_wait_loadcnt_dscnt 0x0
	v_mad_u32 v33, v33, s12, v72
	v_fmaak_f32 v31, s43, v78, 0xb85ffb93
	s_delay_alu instid0(VALU_DEP_1) | instskip(SKIP_3) | instid1(VALU_DEP_1)
	v_pk_fma_f32 v[80:81], v[78:79], v[30:31], v[34:35] op_sel_hi:[0,1,1]
	global_load_b64 v[74:75], v33, s[20:21] scale_offset
	s_wait_xcnt 0x0
	v_fmaak_f32 v33, s44, v78, 0x3a83ca0c
	v_pk_fma_f32 v[82:83], v[78:79], v[32:33], v[36:37] op_sel_hi:[0,1,1]
	v_pk_fma_f32 v[78:79], v[78:79], v[80:81], v[38:39] op_sel_hi:[0,1,1]
	v_mov_b32_e32 v80, v27
	s_delay_alu instid0(VALU_DEP_2) | instskip(SKIP_3) | instid1(VALU_DEP_2)
	v_pk_fma_f32 v[76:77], v[76:77], v[82:83], v[78:79] op_sel_hi:[0,1,1]
	ds_load_b32 v78, v62 offset:652
	v_div_scale_f32 v31, null, v76, v76, 1.0
	v_div_scale_f32 v85, vcc_lo, 1.0, v76, 1.0
	v_rcp_f32_e32 v33, v31
	v_nop
	s_delay_alu instid0(TRANS32_DEP_1) | instskip(NEXT) | instid1(VALU_DEP_1)
	v_fma_f32 v79, -v31, v33, 1.0
	v_fmac_f32_e32 v33, v79, v33
	v_rsq_f32_e32 v81, v84
	v_nop
	s_delay_alu instid0(VALU_DEP_2)
	v_mul_f32_e32 v84, v85, v33
	s_delay_alu instid0(TRANS32_DEP_1) | instid1(VALU_DEP_1)
	v_dual_mov_b32 v79, v81 :: v_dual_fma_f32 v82, -v31, v84, v85
	s_wait_dscnt 0x0
	s_delay_alu instid0(VALU_DEP_1) | instskip(NEXT) | instid1(VALU_DEP_2)
	v_pk_mul_f32 v[78:79], v[80:81], v[78:79]
	v_fmac_f32_e32 v84, v82, v33
	v_and_b32_e32 v80, s5, v69
	s_delay_alu instid0(VALU_DEP_3) | instskip(NEXT) | instid1(VALU_DEP_3)
	v_pk_mul_f32 v[82:83], v[78:79], v[78:79]
	v_fma_f32 v31, -v31, v84, v85
	s_delay_alu instid0(VALU_DEP_3) | instskip(NEXT) | instid1(VALU_DEP_1)
	v_cmp_eq_u32_e64 s5, 0, v80
	v_cndmask_b32_e64 v82, 1.0, 0, s5
	s_delay_alu instid0(VALU_DEP_1) | instskip(NEXT) | instid1(VALU_DEP_4)
	v_mov_b32_e32 v85, v82
	v_div_fmas_f32 v31, v31, v33, v84
	v_mov_b32_e32 v84, v81
	v_pk_mul_f32 v[80:81], v[82:83], v[78:79] op_sel:[0,1]
	s_delay_alu instid0(VALU_DEP_3) | instskip(NEXT) | instid1(VALU_DEP_1)
	v_div_fixup_f32 v31, v31, v76, 1.0
	v_mul_f32_e32 v31, v31, v77
	s_delay_alu instid0(VALU_DEP_3) | instskip(SKIP_1) | instid1(VALU_DEP_1)
	v_pk_mul_f32 v[76:77], v[84:85], v[80:81]
	s_wait_loadcnt 0x0
	v_fma_f32 v83, v77, v75, -v74
	s_delay_alu instid0(VALU_DEP_3) | instskip(NEXT) | instid1(VALU_DEP_1)
	v_mul_f32_e32 v82, s41, v31
	v_pk_mul_f32 v[74:75], v[76:77], v[82:83]
	v_pk_fma_f32 v[76:77], v[84:85], v[80:81], v[82:83]
	s_delay_alu instid0(VALU_DEP_2) | instskip(NEXT) | instid1(VALU_DEP_1)
	v_dual_mov_b32 v77, v75 :: v_dual_mul_f32 v74, v75, v79
	v_pk_fma_f32 v[74:75], v[76:77], v[78:79], v[74:75] op_sel_hi:[1,1,0]
	s_delay_alu instid0(VALU_DEP_1) | instskip(SKIP_2) | instid1(VALU_DEP_3)
	v_pk_mul_f32 v[76:77], v[46:47], v[74:75] op_sel_hi:[1,0]
	v_pk_fma_f32 v[44:45], v[46:47], v[74:75], v[44:45] op_sel_hi:[1,0,1] neg_lo:[1,0,0] neg_hi:[1,0,0]
	v_dual_fma_f32 v71, -v73, v74, v71 :: v_dual_fma_f32 v21, v73, v74, v21
	v_add_f32_e32 v5, v5, v76
	s_delay_alu instid0(VALU_DEP_4)
	v_add_f32_e32 v13, v13, v77
.LBB0_31:                               ;   in Loop: Header=BB0_7 Depth=2
	s_or_b32 exec_lo, exec_lo, s49
.LBB0_32:                               ;   in Loop: Header=BB0_7 Depth=2
	s_delay_alu instid0(SALU_CYCLE_1) | instskip(SKIP_3) | instid1(VALU_DEP_1)
	s_or_b32 exec_lo, exec_lo, s48
	s_lshl_b32 s5, s47, 6
	s_mov_b32 s48, exec_lo
	v_and_b32_e32 v31, s5, v68
	v_cmpx_ne_u32_e32 0, v31
	s_cbranch_execz .LBB0_36
; %bb.33:                               ;   in Loop: Header=BB0_7 Depth=2
	ds_load_b96 v[74:76], v64 offset:768
	s_cmp_lg_u32 s39, s46
	s_cselect_b32 s49, -1, 0
	s_delay_alu instid0(SALU_CYCLE_1) | instskip(SKIP_2) | instid1(VALU_DEP_1)
	s_or_b32 s49, s42, s49
	s_wait_loadcnt_dscnt 0x100
	v_pk_add_f32 v[46:47], v[74:75], v[24:25] neg_lo:[0,1] neg_hi:[0,1]
	v_pk_mul_f32 v[74:75], v[46:47], v[46:47]
	s_delay_alu instid0(VALU_DEP_1) | instskip(NEXT) | instid1(VALU_DEP_1)
	v_dual_sub_f32 v73, v76, v26 :: v_dual_add_f32 v31, v74, v75
	v_fmac_f32_e32 v31, v73, v73
	s_delay_alu instid0(VALU_DEP_1) | instskip(SKIP_1) | instid1(SALU_CYCLE_1)
	v_cmp_gt_f32_e32 vcc_lo, s13, v31
	s_and_b32 s50, vcc_lo, s49
	s_and_saveexec_b32 s49, s50
	s_cbranch_execz .LBB0_35
; %bb.34:                               ;   in Loop: Header=BB0_7 Depth=2
	ds_load_b32 v33, v65 offset:1984
	v_max_num_f32_e32 v31, v31, v31
	s_delay_alu instid0(VALU_DEP_1) | instskip(NEXT) | instid1(VALU_DEP_1)
	v_max_num_f32_e32 v84, 0x34cd15ae, v31
	v_mul_f32_e32 v76, s31, v84
	s_delay_alu instid0(VALU_DEP_1) | instskip(SKIP_2) | instid1(VALU_DEP_2)
	v_mul_f32_e32 v78, v76, v76
	s_wait_loadcnt_dscnt 0x0
	v_mad_u32 v33, v33, s12, v72
	v_fmaak_f32 v31, s43, v78, 0xb85ffb93
	s_delay_alu instid0(VALU_DEP_1) | instskip(SKIP_3) | instid1(VALU_DEP_1)
	v_pk_fma_f32 v[80:81], v[78:79], v[30:31], v[34:35] op_sel_hi:[0,1,1]
	global_load_b64 v[74:75], v33, s[20:21] scale_offset
	s_wait_xcnt 0x0
	v_fmaak_f32 v33, s44, v78, 0x3a83ca0c
	v_pk_fma_f32 v[82:83], v[78:79], v[32:33], v[36:37] op_sel_hi:[0,1,1]
	v_pk_fma_f32 v[78:79], v[78:79], v[80:81], v[38:39] op_sel_hi:[0,1,1]
	v_mov_b32_e32 v80, v27
	s_delay_alu instid0(VALU_DEP_2) | instskip(SKIP_3) | instid1(VALU_DEP_2)
	v_pk_fma_f32 v[76:77], v[76:77], v[82:83], v[78:79] op_sel_hi:[0,1,1]
	ds_load_b32 v78, v64 offset:780
	v_div_scale_f32 v31, null, v76, v76, 1.0
	v_div_scale_f32 v85, vcc_lo, 1.0, v76, 1.0
	v_rcp_f32_e32 v33, v31
	v_nop
	s_delay_alu instid0(TRANS32_DEP_1) | instskip(NEXT) | instid1(VALU_DEP_1)
	v_fma_f32 v79, -v31, v33, 1.0
	v_fmac_f32_e32 v33, v79, v33
	v_rsq_f32_e32 v81, v84
	v_nop
	s_delay_alu instid0(VALU_DEP_2)
	v_mul_f32_e32 v84, v85, v33
	s_delay_alu instid0(TRANS32_DEP_1) | instid1(VALU_DEP_1)
	v_dual_mov_b32 v79, v81 :: v_dual_fma_f32 v82, -v31, v84, v85
	s_wait_dscnt 0x0
	s_delay_alu instid0(VALU_DEP_1) | instskip(NEXT) | instid1(VALU_DEP_2)
	v_pk_mul_f32 v[78:79], v[80:81], v[78:79]
	v_fmac_f32_e32 v84, v82, v33
	v_and_b32_e32 v80, s5, v69
	s_delay_alu instid0(VALU_DEP_3) | instskip(NEXT) | instid1(VALU_DEP_3)
	v_pk_mul_f32 v[82:83], v[78:79], v[78:79]
	v_fma_f32 v31, -v31, v84, v85
	s_delay_alu instid0(VALU_DEP_3) | instskip(NEXT) | instid1(VALU_DEP_1)
	v_cmp_eq_u32_e64 s5, 0, v80
	v_cndmask_b32_e64 v82, 1.0, 0, s5
	s_delay_alu instid0(VALU_DEP_1) | instskip(NEXT) | instid1(VALU_DEP_4)
	v_mov_b32_e32 v85, v82
	v_div_fmas_f32 v31, v31, v33, v84
	v_mov_b32_e32 v84, v81
	v_pk_mul_f32 v[80:81], v[82:83], v[78:79] op_sel:[0,1]
	s_delay_alu instid0(VALU_DEP_3) | instskip(NEXT) | instid1(VALU_DEP_1)
	v_div_fixup_f32 v31, v31, v76, 1.0
	v_mul_f32_e32 v31, v31, v77
	s_delay_alu instid0(VALU_DEP_3) | instskip(SKIP_1) | instid1(VALU_DEP_1)
	v_pk_mul_f32 v[76:77], v[84:85], v[80:81]
	s_wait_loadcnt 0x0
	v_fma_f32 v83, v77, v75, -v74
	s_delay_alu instid0(VALU_DEP_3) | instskip(NEXT) | instid1(VALU_DEP_1)
	v_mul_f32_e32 v82, s41, v31
	v_pk_mul_f32 v[74:75], v[76:77], v[82:83]
	v_pk_fma_f32 v[76:77], v[84:85], v[80:81], v[82:83]
	s_delay_alu instid0(VALU_DEP_2) | instskip(NEXT) | instid1(VALU_DEP_1)
	v_dual_mov_b32 v77, v75 :: v_dual_mul_f32 v74, v75, v79
	v_pk_fma_f32 v[74:75], v[76:77], v[78:79], v[74:75] op_sel_hi:[1,1,0]
	s_delay_alu instid0(VALU_DEP_1) | instskip(SKIP_2) | instid1(VALU_DEP_3)
	v_pk_mul_f32 v[76:77], v[46:47], v[74:75] op_sel_hi:[1,0]
	v_pk_fma_f32 v[44:45], v[46:47], v[74:75], v[44:45] op_sel_hi:[1,0,1] neg_lo:[1,0,0] neg_hi:[1,0,0]
	v_dual_fma_f32 v71, -v73, v74, v71 :: v_dual_fma_f32 v22, v73, v74, v22
	v_add_f32_e32 v6, v6, v76
	s_delay_alu instid0(VALU_DEP_4)
	v_add_f32_e32 v14, v14, v77
.LBB0_35:                               ;   in Loop: Header=BB0_7 Depth=2
	s_or_b32 exec_lo, exec_lo, s49
.LBB0_36:                               ;   in Loop: Header=BB0_7 Depth=2
	s_delay_alu instid0(SALU_CYCLE_1) | instskip(SKIP_3) | instid1(VALU_DEP_1)
	s_or_b32 exec_lo, exec_lo, s48
	s_lshl_b32 s5, s47, 7
	s_mov_b32 s47, exec_lo
	v_and_b32_e32 v31, s5, v68
	v_cmpx_ne_u32_e32 0, v31
	s_cbranch_execz .LBB0_40
; %bb.37:                               ;   in Loop: Header=BB0_7 Depth=2
	ds_load_b96 v[74:76], v66 offset:896
	s_cmp_lg_u32 s40, s46
	s_cselect_b32 s46, -1, 0
	s_delay_alu instid0(SALU_CYCLE_1) | instskip(SKIP_2) | instid1(VALU_DEP_1)
	s_or_b32 s46, s42, s46
	s_wait_loadcnt_dscnt 0x100
	v_pk_add_f32 v[24:25], v[74:75], v[24:25] neg_lo:[0,1] neg_hi:[0,1]
	v_pk_mul_f32 v[46:47], v[24:25], v[24:25]
	s_delay_alu instid0(VALU_DEP_1) | instskip(NEXT) | instid1(VALU_DEP_1)
	v_dual_sub_f32 v26, v76, v26 :: v_dual_add_f32 v31, v46, v47
	v_fmac_f32_e32 v31, v26, v26
	s_delay_alu instid0(VALU_DEP_1) | instskip(SKIP_1) | instid1(SALU_CYCLE_1)
	v_cmp_gt_f32_e32 vcc_lo, s13, v31
	s_and_b32 s48, vcc_lo, s46
	s_and_saveexec_b32 s46, s48
	s_cbranch_execz .LBB0_39
; %bb.38:                               ;   in Loop: Header=BB0_7 Depth=2
	ds_load_b32 v33, v67 offset:2016
	v_max_num_f32_e32 v31, v31, v31
	s_delay_alu instid0(VALU_DEP_1) | instskip(SKIP_2) | instid1(VALU_DEP_2)
	v_max_num_f32_e32 v80, 0x34cd15ae, v31
	s_wait_loadcnt_dscnt 0x0
	v_mad_u32 v33, v33, s12, v72
	v_mul_f32_e32 v72, s31, v80
	s_delay_alu instid0(VALU_DEP_1) | instskip(NEXT) | instid1(VALU_DEP_1)
	v_mul_f32_e32 v74, v72, v72
	v_fmaak_f32 v31, s43, v74, 0xb85ffb93
	global_load_b64 v[46:47], v33, s[20:21] scale_offset
	s_wait_xcnt 0x0
	v_fmaak_f32 v33, s44, v74, 0x3a83ca0c
	v_pk_fma_f32 v[76:77], v[74:75], v[30:31], v[34:35] op_sel_hi:[0,1,1]
	s_delay_alu instid0(VALU_DEP_2) | instskip(NEXT) | instid1(VALU_DEP_2)
	v_pk_fma_f32 v[78:79], v[74:75], v[32:33], v[36:37] op_sel_hi:[0,1,1]
	v_pk_fma_f32 v[74:75], v[74:75], v[76:77], v[38:39] op_sel_hi:[0,1,1]
	v_mov_b32_e32 v76, v27
	s_delay_alu instid0(VALU_DEP_2) | instskip(SKIP_3) | instid1(VALU_DEP_2)
	v_pk_fma_f32 v[72:73], v[72:73], v[78:79], v[74:75] op_sel_hi:[0,1,1]
	ds_load_b32 v74, v66 offset:908
	v_div_scale_f32 v31, null, v72, v72, 1.0
	v_div_scale_f32 v81, vcc_lo, 1.0, v72, 1.0
	v_rcp_f32_e32 v33, v31
	v_nop
	s_delay_alu instid0(TRANS32_DEP_1) | instskip(NEXT) | instid1(VALU_DEP_1)
	v_fma_f32 v75, -v31, v33, 1.0
	v_fmac_f32_e32 v33, v75, v33
	v_rsq_f32_e32 v77, v80
	v_nop
	s_delay_alu instid0(VALU_DEP_2)
	v_mul_f32_e32 v80, v81, v33
	s_delay_alu instid0(TRANS32_DEP_1) | instid1(VALU_DEP_1)
	v_dual_mov_b32 v75, v77 :: v_dual_fma_f32 v27, -v31, v80, v81
	s_wait_dscnt 0x0
	s_delay_alu instid0(VALU_DEP_1) | instskip(NEXT) | instid1(VALU_DEP_2)
	v_pk_mul_f32 v[74:75], v[76:77], v[74:75]
	v_fmac_f32_e32 v80, v27, v33
	v_and_b32_e32 v27, s5, v69
	s_delay_alu instid0(VALU_DEP_3) | instskip(NEXT) | instid1(VALU_DEP_3)
	v_pk_mul_f32 v[78:79], v[74:75], v[74:75]
	v_fma_f32 v31, -v31, v80, v81
	s_delay_alu instid0(VALU_DEP_3) | instskip(NEXT) | instid1(VALU_DEP_1)
	v_cmp_eq_u32_e64 s5, 0, v27
	v_cndmask_b32_e64 v78, 1.0, 0, s5
	s_delay_alu instid0(VALU_DEP_1) | instskip(NEXT) | instid1(VALU_DEP_4)
	v_mov_b32_e32 v81, v78
	v_div_fmas_f32 v27, v31, v33, v80
	v_mov_b32_e32 v80, v77
	v_pk_mul_f32 v[76:77], v[78:79], v[74:75] op_sel:[0,1]
	s_delay_alu instid0(VALU_DEP_3) | instskip(NEXT) | instid1(VALU_DEP_1)
	v_div_fixup_f32 v27, v27, v72, 1.0
	v_mul_f32_e32 v27, v27, v73
	s_delay_alu instid0(VALU_DEP_3) | instskip(SKIP_1) | instid1(VALU_DEP_1)
	v_pk_mul_f32 v[72:73], v[80:81], v[76:77]
	s_wait_loadcnt 0x0
	v_fma_f32 v79, v73, v47, -v46
	s_delay_alu instid0(VALU_DEP_3) | instskip(NEXT) | instid1(VALU_DEP_1)
	v_mul_f32_e32 v78, s41, v27
	v_pk_mul_f32 v[46:47], v[72:73], v[78:79]
	v_pk_fma_f32 v[72:73], v[80:81], v[76:77], v[78:79]
	s_delay_alu instid0(VALU_DEP_2) | instskip(NEXT) | instid1(VALU_DEP_1)
	v_dual_mov_b32 v73, v47 :: v_dual_mul_f32 v46, v47, v75
	v_pk_fma_f32 v[46:47], v[72:73], v[74:75], v[46:47] op_sel_hi:[1,1,0]
	s_delay_alu instid0(VALU_DEP_1) | instskip(SKIP_2) | instid1(VALU_DEP_3)
	v_pk_mul_f32 v[72:73], v[24:25], v[46:47] op_sel_hi:[1,0]
	v_pk_fma_f32 v[44:45], v[24:25], v[46:47], v[44:45] op_sel_hi:[1,0,1] neg_lo:[1,0,0] neg_hi:[1,0,0]
	v_fma_f32 v71, -v26, v46, v71
	v_dual_fma_f32 v23, v26, v46, v23 :: v_dual_add_f32 v15, v15, v73
	s_delay_alu instid0(VALU_DEP_4)
	v_add_f32_e32 v7, v7, v72
.LBB0_39:                               ;   in Loop: Header=BB0_7 Depth=2
	s_or_b32 exec_lo, exec_lo, s46
.LBB0_40:                               ;   in Loop: Header=BB0_7 Depth=2
	s_delay_alu instid0(SALU_CYCLE_1) | instskip(SKIP_4) | instid1(VALU_DEP_1)
	s_or_b32 exec_lo, exec_lo, s47
	v_cmp_ne_u32_e32 vcc_lo, 31, v60
	s_wait_loadcnt 0x1
	v_add_nc_u32_e32 v27, -2, v60
	v_add_co_ci_u32_e64 v25, null, 0, v60, vcc_lo
	v_dual_add_nc_u32 v24, -1, v60 :: v_dual_lshlrev_b32 v25, 2, v25
	s_delay_alu instid0(VALU_DEP_1) | instskip(SKIP_4) | instid1(VALU_DEP_2)
	v_cmp_gt_i32_e32 vcc_lo, 0, v24
	ds_bpermute_b32 v26, v25, v44
	ds_bpermute_b32 v25, v25, v71
	v_cndmask_b32_e32 v24, v24, v60, vcc_lo
	v_cmp_gt_u32_e32 vcc_lo, 30, v60
	v_lshlrev_b32_e32 v24, 2, v24
	v_cndmask_b32_e64 v31, 0, 2, vcc_lo
	v_cmp_gt_i32_e32 vcc_lo, 0, v27
	s_delay_alu instid0(VALU_DEP_2)
	v_add_lshl_u32 v31, v31, v60, 2
	s_wait_dscnt 0x1
	v_add_f32_e32 v26, v44, v26
	ds_bpermute_b32 v24, v24, v45
	s_wait_dscnt 0x0
	v_add_f32_e32 v24, v45, v24
	v_cndmask_b32_e32 v27, v27, v60, vcc_lo
	v_cmp_gt_u32_e32 vcc_lo, 28, v60
	s_delay_alu instid0(VALU_DEP_2)
	v_dual_cndmask_b32 v24, v24, v26, s3 :: v_dual_lshlrev_b32 v27, 2, v27
	v_add_f32_e32 v25, v71, v25
	ds_bpermute_b32 v26, v27, v25
	ds_bpermute_b32 v27, v31, v24
	s_wait_dscnt 0x0
	v_dual_add_f32 v24, v24, v27 :: v_dual_add_f32 v25, v25, v26
	v_cndmask_b32_e64 v26, 0, 4, vcc_lo
	s_delay_alu instid0(VALU_DEP_2) | instskip(NEXT) | instid1(VALU_DEP_2)
	v_cndmask_b32_e64 v24, v25, v24, s4
	v_add_lshl_u32 v25, v26, v60, 2
	ds_bpermute_b32 v25, v25, v24
	s_and_saveexec_b32 s5, s2
	s_cbranch_execz .LBB0_5
; %bb.41:                               ;   in Loop: Header=BB0_7 Depth=2
	v_mad_nc_i64_i32 v[26:27], v70, 12, v[42:43]
	s_wait_dscnt 0x0
	v_add_f32_e32 v24, v24, v25
	global_atomic_add_f32 v[26:27], v24, off scope:SCOPE_DEV
	s_branch .LBB0_5
.LBB0_42:
	v_mov_b32_e32 v0, 0
	s_delay_alu instid0(VALU_DEP_1) | instskip(SKIP_3) | instid1(VALU_DEP_3)
	v_dual_mov_b32 v5, v0 :: v_dual_mov_b32 v6, v0
	v_dual_mov_b32 v7, v0 :: v_dual_mov_b32 v1, v0
	;; [unrolled: 1-line block ×3, first 2 shown]
	v_mov_b32_e32 v4, v0
	v_mov_b64_e32 v[14:15], v[6:7]
	v_mov_b64_e32 v[22:23], v[6:7]
	;; [unrolled: 1-line block ×8, first 2 shown]
.LBB0_43:
	s_load_b64 s[4:5], s[0:1], 0x18
	v_lshlrev_b32_e32 v28, 2, v50
	s_wait_xcnt 0x0
	v_cmp_gt_u32_e64 s0, 4, v48
	ds_store_2addr_stride64_b32 v28, v0, v8 offset0:4 offset1:5
	ds_store_b32 v28, v16 offset:1536
	s_wait_storecnt 0x0
	s_wait_loadcnt_dscnt 0x0
	s_barrier_signal -1
	s_barrier_wait -1
	s_and_saveexec_b32 s1, s0
	s_cbranch_execz .LBB0_45
; %bb.44:
	v_add_nc_u32_e32 v0, 0x400, v28
	ds_load_2addr_b32 v[24:25], v0 offset1:32
	ds_load_2addr_b32 v[26:27], v0 offset0:64 offset1:96
	ds_load_2addr_b32 v[30:31], v0 offset0:128 offset1:160
	s_wait_dscnt 0x1
	v_dual_add_f32 v0, v25, v24 :: v_dual_add_f32 v8, v27, v26
	s_wait_dscnt 0x0
	v_add_f32_e32 v16, v31, v30
	ds_store_2addr_stride64_b32 v28, v0, v8 offset0:4 offset1:5
	ds_store_b32 v28, v16 offset:1536
.LBB0_45:
	s_or_b32 exec_lo, exec_lo, s1
	v_cmp_gt_u32_e64 s2, 2, v48
	s_wait_dscnt 0x0
	s_barrier_signal -1
	s_barrier_wait -1
	s_and_saveexec_b32 s1, s2
	s_cbranch_execz .LBB0_47
; %bb.46:
	v_add_nc_u32_e32 v0, 0x400, v28
	ds_load_2addr_b32 v[24:25], v0 offset1:16
	ds_load_2addr_b32 v[26:27], v0 offset0:64 offset1:80
	ds_load_2addr_b32 v[30:31], v0 offset0:128 offset1:144
	s_wait_dscnt 0x1
	v_dual_add_f32 v0, v25, v24 :: v_dual_add_f32 v8, v27, v26
	s_wait_dscnt 0x0
	v_add_f32_e32 v16, v31, v30
	ds_store_2addr_stride64_b32 v28, v0, v8 offset0:4 offset1:5
	ds_store_b32 v28, v16 offset:1536
.LBB0_47:
	s_or_b32 exec_lo, exec_lo, s1
	v_dual_mov_b32 v25, 0 :: v_dual_lshlrev_b32 v24, 2, v48
	v_dual_lshlrev_b32 v8, 8, v48 :: v_dual_add_nc_u32 v0, s28, v49
	s_bitcmp1_b32 s29, 0
	s_wait_dscnt 0x0
	s_cselect_b32 s1, -1, 0
	v_add_nc_u64_e32 v[26:27], s[10:11], v[24:25]
	s_and_b32 vcc_lo, s1, s30
	v_cmp_gt_u32_e64 s1, 3, v48
	v_lshl_add_u32 v8, v49, 2, v8
	s_barrier_signal -1
	s_barrier_wait -1
	s_and_saveexec_b32 s3, s1
	s_cbranch_execz .LBB0_49
; %bb.48:
	v_add_nc_u32_e32 v16, 0x400, v8
	v_mad_nc_i64_i32 v[30:31], v0, 12, v[26:27]
	ds_load_2addr_b32 v[24:25], v16 offset1:8
	s_wait_dscnt 0x0
	v_add_f32_e32 v16, v24, v25
	global_atomic_add_f32 v[30:31], v16, off scope:SCOPE_DEV
	s_wait_xcnt 0x0
	v_add_f32_e32 v16, 0, v16
	s_delay_alu instid0(VALU_DEP_1)
	v_cndmask_b32_e32 v25, 0, v16, vcc_lo
.LBB0_49:
	s_or_b32 exec_lo, exec_lo, s3
	s_wait_storecnt 0x0
	s_barrier_signal -1
	s_barrier_wait -1
	ds_store_2addr_stride64_b32 v28, v1, v9 offset0:4 offset1:5
	ds_store_b32 v28, v17 offset:1536
	s_wait_dscnt 0x0
	s_barrier_signal -1
	s_barrier_wait -1
	s_and_saveexec_b32 s3, s0
	s_cbranch_execz .LBB0_51
; %bb.50:
	v_add_nc_u32_e32 v1, 0x400, v28
	ds_load_2addr_b32 v[16:17], v1 offset1:32
	ds_load_2addr_b32 v[30:31], v1 offset0:64 offset1:96
	ds_load_2addr_b32 v[32:33], v1 offset0:128 offset1:160
	s_wait_dscnt 0x1
	v_dual_add_f32 v1, v17, v16 :: v_dual_add_f32 v9, v31, v30
	s_wait_dscnt 0x0
	v_add_f32_e32 v16, v33, v32
	ds_store_2addr_stride64_b32 v28, v1, v9 offset0:4 offset1:5
	ds_store_b32 v28, v16 offset:1536
.LBB0_51:
	s_or_b32 exec_lo, exec_lo, s3
	s_wait_dscnt 0x0
	s_barrier_signal -1
	s_barrier_wait -1
	s_and_saveexec_b32 s3, s2
	s_cbranch_execz .LBB0_53
; %bb.52:
	v_add_nc_u32_e32 v1, 0x400, v28
	ds_load_2addr_b32 v[16:17], v1 offset1:16
	ds_load_2addr_b32 v[30:31], v1 offset0:64 offset1:80
	ds_load_2addr_b32 v[32:33], v1 offset0:128 offset1:144
	s_wait_dscnt 0x1
	v_dual_add_f32 v1, v17, v16 :: v_dual_add_f32 v9, v31, v30
	s_wait_dscnt 0x0
	v_add_f32_e32 v16, v33, v32
	ds_store_2addr_stride64_b32 v28, v1, v9 offset0:4 offset1:5
	ds_store_b32 v28, v16 offset:1536
.LBB0_53:
	s_or_b32 exec_lo, exec_lo, s3
	s_wait_dscnt 0x0
	s_barrier_signal -1
	s_barrier_wait -1
	s_and_saveexec_b32 s3, s1
	s_cbranch_execz .LBB0_55
; %bb.54:
	v_add_nc_u32_e32 v1, 0x400, v8
	ds_load_2addr_b32 v[16:17], v1 offset1:8
	v_add_nc_u32_e32 v1, 8, v0
	s_delay_alu instid0(VALU_DEP_1)
	v_mad_nc_i64_i32 v[30:31], v1, 12, v[26:27]
	s_wait_dscnt 0x0
	v_add_f32_e32 v1, v16, v17
	global_atomic_add_f32 v[30:31], v1, off scope:SCOPE_DEV
	s_wait_xcnt 0x0
	v_add_f32_e32 v1, v25, v1
	s_delay_alu instid0(VALU_DEP_1)
	v_cndmask_b32_e32 v25, v25, v1, vcc_lo
.LBB0_55:
	s_or_b32 exec_lo, exec_lo, s3
	s_wait_storecnt 0x0
	s_barrier_signal -1
	s_barrier_wait -1
	ds_store_2addr_stride64_b32 v28, v2, v10 offset0:4 offset1:5
	ds_store_b32 v28, v18 offset:1536
	s_wait_dscnt 0x0
	s_barrier_signal -1
	s_barrier_wait -1
	s_and_saveexec_b32 s3, s0
	s_cbranch_execz .LBB0_57
; %bb.56:
	v_add_nc_u32_e32 v1, 0x400, v28
	ds_load_2addr_b32 v[16:17], v1 offset1:32
	ds_load_2addr_b32 v[30:31], v1 offset0:64 offset1:96
	ds_load_2addr_b32 v[32:33], v1 offset0:128 offset1:160
	s_wait_dscnt 0x1
	v_dual_add_f32 v1, v17, v16 :: v_dual_add_f32 v2, v31, v30
	s_wait_dscnt 0x0
	v_add_f32_e32 v9, v33, v32
	ds_store_2addr_stride64_b32 v28, v1, v2 offset0:4 offset1:5
	ds_store_b32 v28, v9 offset:1536
.LBB0_57:
	s_or_b32 exec_lo, exec_lo, s3
	s_wait_dscnt 0x0
	s_barrier_signal -1
	s_barrier_wait -1
	s_and_saveexec_b32 s3, s2
	s_cbranch_execz .LBB0_59
; %bb.58:
	v_add_nc_u32_e32 v1, 0x400, v28
	ds_load_2addr_b32 v[16:17], v1 offset1:16
	ds_load_2addr_b32 v[30:31], v1 offset0:64 offset1:80
	ds_load_2addr_b32 v[32:33], v1 offset0:128 offset1:144
	s_wait_dscnt 0x1
	v_dual_add_f32 v1, v17, v16 :: v_dual_add_f32 v2, v31, v30
	s_wait_dscnt 0x0
	v_add_f32_e32 v9, v33, v32
	ds_store_2addr_stride64_b32 v28, v1, v2 offset0:4 offset1:5
	ds_store_b32 v28, v9 offset:1536
.LBB0_59:
	s_or_b32 exec_lo, exec_lo, s3
	s_wait_dscnt 0x0
	s_barrier_signal -1
	s_barrier_wait -1
	s_and_saveexec_b32 s3, s1
	s_cbranch_execz .LBB0_61
; %bb.60:
	v_add_nc_u32_e32 v1, 0x400, v8
	ds_load_2addr_b32 v[16:17], v1 offset1:8
	v_add_nc_u32_e32 v1, 16, v0
	s_delay_alu instid0(VALU_DEP_1)
	v_mad_nc_i64_i32 v[30:31], v1, 12, v[26:27]
	s_wait_dscnt 0x0
	v_add_f32_e32 v1, v16, v17
	global_atomic_add_f32 v[30:31], v1, off scope:SCOPE_DEV
	s_wait_xcnt 0x0
	v_add_f32_e32 v1, v25, v1
	s_delay_alu instid0(VALU_DEP_1)
	v_cndmask_b32_e32 v25, v25, v1, vcc_lo
.LBB0_61:
	s_or_b32 exec_lo, exec_lo, s3
	s_wait_storecnt 0x0
	s_barrier_signal -1
	s_barrier_wait -1
	ds_store_2addr_stride64_b32 v28, v3, v11 offset0:4 offset1:5
	ds_store_b32 v28, v19 offset:1536
	s_wait_dscnt 0x0
	s_barrier_signal -1
	s_barrier_wait -1
	s_and_saveexec_b32 s3, s0
	s_cbranch_execz .LBB0_63
; %bb.62:
	v_add_nc_u32_e32 v1, 0x400, v28
	ds_load_2addr_b32 v[2:3], v1 offset1:32
	ds_load_2addr_b32 v[10:11], v1 offset0:64 offset1:96
	ds_load_2addr_b32 v[16:17], v1 offset0:128 offset1:160
	s_wait_dscnt 0x2
	v_add_f32_e32 v1, v3, v2
	s_wait_dscnt 0x0
	v_dual_add_f32 v2, v11, v10 :: v_dual_add_f32 v3, v17, v16
	ds_store_2addr_stride64_b32 v28, v1, v2 offset0:4 offset1:5
	ds_store_b32 v28, v3 offset:1536
.LBB0_63:
	s_or_b32 exec_lo, exec_lo, s3
	s_wait_dscnt 0x0
	s_barrier_signal -1
	s_barrier_wait -1
	s_and_saveexec_b32 s3, s2
	s_cbranch_execz .LBB0_65
; %bb.64:
	v_add_nc_u32_e32 v1, 0x400, v28
	ds_load_2addr_b32 v[2:3], v1 offset1:16
	ds_load_2addr_b32 v[10:11], v1 offset0:64 offset1:80
	ds_load_2addr_b32 v[16:17], v1 offset0:128 offset1:144
	s_wait_dscnt 0x2
	v_add_f32_e32 v1, v3, v2
	s_wait_dscnt 0x0
	v_dual_add_f32 v2, v11, v10 :: v_dual_add_f32 v3, v17, v16
	ds_store_2addr_stride64_b32 v28, v1, v2 offset0:4 offset1:5
	ds_store_b32 v28, v3 offset:1536
.LBB0_65:
	s_or_b32 exec_lo, exec_lo, s3
	s_wait_dscnt 0x0
	s_barrier_signal -1
	s_barrier_wait -1
	s_and_saveexec_b32 s3, s1
	s_cbranch_execz .LBB0_67
; %bb.66:
	v_add_nc_u32_e32 v1, 0x400, v8
	ds_load_2addr_b32 v[2:3], v1 offset1:8
	v_add_nc_u32_e32 v1, 24, v0
	s_delay_alu instid0(VALU_DEP_1)
	v_mad_nc_i64_i32 v[10:11], v1, 12, v[26:27]
	s_wait_dscnt 0x0
	v_add_f32_e32 v1, v2, v3
	global_atomic_add_f32 v[10:11], v1, off scope:SCOPE_DEV
	s_wait_xcnt 0x0
	v_add_f32_e32 v1, v25, v1
	s_delay_alu instid0(VALU_DEP_1)
	v_cndmask_b32_e32 v25, v25, v1, vcc_lo
.LBB0_67:
	s_or_b32 exec_lo, exec_lo, s3
	s_wait_storecnt 0x0
	s_barrier_signal -1
	s_barrier_wait -1
	ds_store_2addr_stride64_b32 v28, v4, v12 offset0:4 offset1:5
	ds_store_b32 v28, v20 offset:1536
	s_wait_dscnt 0x0
	s_barrier_signal -1
	s_barrier_wait -1
	s_and_saveexec_b32 s3, s0
	s_cbranch_execz .LBB0_69
; %bb.68:
	v_add_nc_u32_e32 v1, 0x400, v28
	ds_load_2addr_b32 v[2:3], v1 offset1:32
	ds_load_2addr_b32 v[10:11], v1 offset0:64 offset1:96
	ds_load_2addr_b32 v[16:17], v1 offset0:128 offset1:160
	s_wait_dscnt 0x2
	v_add_f32_e32 v1, v3, v2
	s_wait_dscnt 0x0
	v_dual_add_f32 v2, v11, v10 :: v_dual_add_f32 v3, v17, v16
	ds_store_2addr_stride64_b32 v28, v1, v2 offset0:4 offset1:5
	ds_store_b32 v28, v3 offset:1536
.LBB0_69:
	s_or_b32 exec_lo, exec_lo, s3
	s_wait_dscnt 0x0
	s_barrier_signal -1
	s_barrier_wait -1
	s_and_saveexec_b32 s3, s2
	s_cbranch_execz .LBB0_71
; %bb.70:
	v_add_nc_u32_e32 v1, 0x400, v28
	ds_load_2addr_b32 v[2:3], v1 offset1:16
	ds_load_2addr_b32 v[10:11], v1 offset0:64 offset1:80
	ds_load_2addr_b32 v[16:17], v1 offset0:128 offset1:144
	s_wait_dscnt 0x2
	v_add_f32_e32 v1, v3, v2
	s_wait_dscnt 0x0
	v_dual_add_f32 v2, v11, v10 :: v_dual_add_f32 v3, v17, v16
	ds_store_2addr_stride64_b32 v28, v1, v2 offset0:4 offset1:5
	ds_store_b32 v28, v3 offset:1536
.LBB0_71:
	s_or_b32 exec_lo, exec_lo, s3
	s_wait_dscnt 0x0
	s_barrier_signal -1
	s_barrier_wait -1
	s_and_saveexec_b32 s3, s1
	s_cbranch_execz .LBB0_73
; %bb.72:
	v_add_nc_u32_e32 v1, 0x400, v8
	ds_load_2addr_b32 v[2:3], v1 offset1:8
	v_add_nc_u32_e32 v1, 32, v0
	s_delay_alu instid0(VALU_DEP_1)
	v_mad_nc_i64_i32 v[10:11], v1, 12, v[26:27]
	s_wait_dscnt 0x0
	v_add_f32_e32 v1, v2, v3
	global_atomic_add_f32 v[10:11], v1, off scope:SCOPE_DEV
	s_wait_xcnt 0x0
	v_add_f32_e32 v1, v25, v1
	s_delay_alu instid0(VALU_DEP_1)
	v_cndmask_b32_e32 v25, v25, v1, vcc_lo
.LBB0_73:
	s_or_b32 exec_lo, exec_lo, s3
	s_wait_storecnt 0x0
	s_barrier_signal -1
	s_barrier_wait -1
	ds_store_2addr_stride64_b32 v28, v5, v13 offset0:4 offset1:5
	ds_store_b32 v28, v21 offset:1536
	s_wait_dscnt 0x0
	s_barrier_signal -1
	s_barrier_wait -1
	s_and_saveexec_b32 s3, s0
	s_cbranch_execz .LBB0_75
; %bb.74:
	v_add_nc_u32_e32 v1, 0x400, v28
	ds_load_2addr_b32 v[2:3], v1 offset1:32
	ds_load_2addr_b32 v[4:5], v1 offset0:64 offset1:96
	ds_load_2addr_b32 v[10:11], v1 offset0:128 offset1:160
	s_wait_dscnt 0x1
	v_dual_add_f32 v1, v3, v2 :: v_dual_add_f32 v2, v5, v4
	s_wait_dscnt 0x0
	v_add_f32_e32 v3, v11, v10
	ds_store_2addr_stride64_b32 v28, v1, v2 offset0:4 offset1:5
	ds_store_b32 v28, v3 offset:1536
.LBB0_75:
	s_or_b32 exec_lo, exec_lo, s3
	s_wait_dscnt 0x0
	s_barrier_signal -1
	s_barrier_wait -1
	s_and_saveexec_b32 s3, s2
	s_cbranch_execz .LBB0_77
; %bb.76:
	v_add_nc_u32_e32 v1, 0x400, v28
	ds_load_2addr_b32 v[2:3], v1 offset1:16
	ds_load_2addr_b32 v[4:5], v1 offset0:64 offset1:80
	ds_load_2addr_b32 v[10:11], v1 offset0:128 offset1:144
	s_wait_dscnt 0x1
	v_dual_add_f32 v1, v3, v2 :: v_dual_add_f32 v2, v5, v4
	s_wait_dscnt 0x0
	v_add_f32_e32 v3, v11, v10
	ds_store_2addr_stride64_b32 v28, v1, v2 offset0:4 offset1:5
	ds_store_b32 v28, v3 offset:1536
.LBB0_77:
	s_or_b32 exec_lo, exec_lo, s3
	s_wait_dscnt 0x0
	s_barrier_signal -1
	s_barrier_wait -1
	s_and_saveexec_b32 s3, s1
	s_cbranch_execz .LBB0_79
; %bb.78:
	v_add_nc_u32_e32 v1, 0x400, v8
	ds_load_2addr_b32 v[2:3], v1 offset1:8
	v_add_nc_u32_e32 v1, 40, v0
	s_delay_alu instid0(VALU_DEP_1)
	v_mad_nc_i64_i32 v[4:5], v1, 12, v[26:27]
	s_wait_dscnt 0x0
	v_add_f32_e32 v1, v2, v3
	global_atomic_add_f32 v[4:5], v1, off scope:SCOPE_DEV
	s_wait_xcnt 0x0
	v_add_f32_e32 v1, v25, v1
	s_delay_alu instid0(VALU_DEP_1)
	v_cndmask_b32_e32 v25, v25, v1, vcc_lo
.LBB0_79:
	s_or_b32 exec_lo, exec_lo, s3
	s_wait_storecnt 0x0
	s_barrier_signal -1
	s_barrier_wait -1
	ds_store_2addr_stride64_b32 v28, v6, v14 offset0:4 offset1:5
	ds_store_b32 v28, v22 offset:1536
	s_wait_dscnt 0x0
	s_barrier_signal -1
	s_barrier_wait -1
	s_and_saveexec_b32 s3, s0
	s_cbranch_execz .LBB0_81
; %bb.80:
	v_add_nc_u32_e32 v1, 0x400, v28
	ds_load_2addr_b32 v[2:3], v1 offset1:32
	ds_load_2addr_b32 v[4:5], v1 offset0:64 offset1:96
	ds_load_2addr_b32 v[10:11], v1 offset0:128 offset1:160
	s_wait_dscnt 0x1
	v_dual_add_f32 v1, v3, v2 :: v_dual_add_f32 v2, v5, v4
	s_wait_dscnt 0x0
	v_add_f32_e32 v3, v11, v10
	ds_store_2addr_stride64_b32 v28, v1, v2 offset0:4 offset1:5
	ds_store_b32 v28, v3 offset:1536
.LBB0_81:
	s_or_b32 exec_lo, exec_lo, s3
	s_wait_dscnt 0x0
	s_barrier_signal -1
	s_barrier_wait -1
	s_and_saveexec_b32 s3, s2
	s_cbranch_execz .LBB0_83
; %bb.82:
	v_add_nc_u32_e32 v1, 0x400, v28
	ds_load_2addr_b32 v[2:3], v1 offset1:16
	ds_load_2addr_b32 v[4:5], v1 offset0:64 offset1:80
	ds_load_2addr_b32 v[10:11], v1 offset0:128 offset1:144
	s_wait_dscnt 0x1
	v_dual_add_f32 v1, v3, v2 :: v_dual_add_f32 v2, v5, v4
	s_wait_dscnt 0x0
	v_add_f32_e32 v3, v11, v10
	ds_store_2addr_stride64_b32 v28, v1, v2 offset0:4 offset1:5
	ds_store_b32 v28, v3 offset:1536
.LBB0_83:
	;; [unrolled: 61-line block ×3, first 2 shown]
	s_or_b32 exec_lo, exec_lo, s0
	s_wait_dscnt 0x0
	s_barrier_signal -1
	s_barrier_wait -1
	s_and_saveexec_b32 s0, s1
	s_cbranch_execz .LBB0_91
; %bb.90:
	v_add_nc_u32_e32 v1, 0x400, v8
	v_add_nc_u32_e32 v0, 56, v0
	ds_load_2addr_b32 v[2:3], v1 offset1:8
	v_mad_nc_i64_i32 v[0:1], v0, 12, v[26:27]
	s_wait_dscnt 0x0
	v_add_f32_e32 v2, v2, v3
	global_atomic_add_f32 v[0:1], v2, off scope:SCOPE_DEV
	s_wait_xcnt 0x0
	v_add_f32_e32 v0, v25, v2
	s_delay_alu instid0(VALU_DEP_1)
	v_cndmask_b32_e32 v25, v25, v0, vcc_lo
.LBB0_91:
	s_or_b32 exec_lo, exec_lo, s0
	s_and_b32 s0, vcc_lo, s1
	s_wait_storecnt 0x0
	s_barrier_signal -1
	s_barrier_wait -1
	s_and_saveexec_b32 s1, s0
	s_cbranch_execz .LBB0_93
; %bb.92:
	s_wait_kmcnt 0x0
	s_add_nc_u64 s[0:1], s[4:5], s[16:17]
	global_atomic_add_f32 v48, v25, s[0:1] scale_offset scope:SCOPE_DEV
.LBB0_93:
	s_sendmsg sendmsg(MSG_DEALLOC_VGPRS)
	s_endpgm
	.section	.rodata,"a",@progbits
	.p2align	6, 0x0
	.amdhsa_kernel _Z15nbnxmKernelTestPK15HIP_vector_typeIfLj4EEPN3gmx11BasicVectorIfEES6_S6_P11nbnxn_cj4_tPK9nbnxn_sciPK12nbnxn_excl_tPKiPKS_IfLj2EEifffb
		.amdhsa_group_segment_fixed_size 2048
		.amdhsa_private_segment_fixed_size 0
		.amdhsa_kernarg_size 92
		.amdhsa_user_sgpr_count 2
		.amdhsa_user_sgpr_dispatch_ptr 0
		.amdhsa_user_sgpr_queue_ptr 0
		.amdhsa_user_sgpr_kernarg_segment_ptr 1
		.amdhsa_user_sgpr_dispatch_id 0
		.amdhsa_user_sgpr_kernarg_preload_length 0
		.amdhsa_user_sgpr_kernarg_preload_offset 0
		.amdhsa_user_sgpr_private_segment_size 0
		.amdhsa_wavefront_size32 1
		.amdhsa_uses_dynamic_stack 0
		.amdhsa_enable_private_segment 0
		.amdhsa_system_sgpr_workgroup_id_x 1
		.amdhsa_system_sgpr_workgroup_id_y 0
		.amdhsa_system_sgpr_workgroup_id_z 1
		.amdhsa_system_sgpr_workgroup_info 0
		.amdhsa_system_vgpr_workitem_id 1
		.amdhsa_next_free_vgpr 86
		.amdhsa_next_free_sgpr 51
		.amdhsa_named_barrier_count 0
		.amdhsa_reserve_vcc 1
		.amdhsa_float_round_mode_32 0
		.amdhsa_float_round_mode_16_64 0
		.amdhsa_float_denorm_mode_32 3
		.amdhsa_float_denorm_mode_16_64 3
		.amdhsa_fp16_overflow 0
		.amdhsa_memory_ordered 1
		.amdhsa_forward_progress 1
		.amdhsa_inst_pref_size 65
		.amdhsa_round_robin_scheduling 0
		.amdhsa_exception_fp_ieee_invalid_op 0
		.amdhsa_exception_fp_denorm_src 0
		.amdhsa_exception_fp_ieee_div_zero 0
		.amdhsa_exception_fp_ieee_overflow 0
		.amdhsa_exception_fp_ieee_underflow 0
		.amdhsa_exception_fp_ieee_inexact 0
		.amdhsa_exception_int_div_zero 0
	.end_amdhsa_kernel
	.text
.Lfunc_end0:
	.size	_Z15nbnxmKernelTestPK15HIP_vector_typeIfLj4EEPN3gmx11BasicVectorIfEES6_S6_P11nbnxn_cj4_tPK9nbnxn_sciPK12nbnxn_excl_tPKiPKS_IfLj2EEifffb, .Lfunc_end0-_Z15nbnxmKernelTestPK15HIP_vector_typeIfLj4EEPN3gmx11BasicVectorIfEES6_S6_P11nbnxn_cj4_tPK9nbnxn_sciPK12nbnxn_excl_tPKiPKS_IfLj2EEifffb
                                        ; -- End function
	.set _Z15nbnxmKernelTestPK15HIP_vector_typeIfLj4EEPN3gmx11BasicVectorIfEES6_S6_P11nbnxn_cj4_tPK9nbnxn_sciPK12nbnxn_excl_tPKiPKS_IfLj2EEifffb.num_vgpr, 86
	.set _Z15nbnxmKernelTestPK15HIP_vector_typeIfLj4EEPN3gmx11BasicVectorIfEES6_S6_P11nbnxn_cj4_tPK9nbnxn_sciPK12nbnxn_excl_tPKiPKS_IfLj2EEifffb.num_agpr, 0
	.set _Z15nbnxmKernelTestPK15HIP_vector_typeIfLj4EEPN3gmx11BasicVectorIfEES6_S6_P11nbnxn_cj4_tPK9nbnxn_sciPK12nbnxn_excl_tPKiPKS_IfLj2EEifffb.numbered_sgpr, 51
	.set _Z15nbnxmKernelTestPK15HIP_vector_typeIfLj4EEPN3gmx11BasicVectorIfEES6_S6_P11nbnxn_cj4_tPK9nbnxn_sciPK12nbnxn_excl_tPKiPKS_IfLj2EEifffb.num_named_barrier, 0
	.set _Z15nbnxmKernelTestPK15HIP_vector_typeIfLj4EEPN3gmx11BasicVectorIfEES6_S6_P11nbnxn_cj4_tPK9nbnxn_sciPK12nbnxn_excl_tPKiPKS_IfLj2EEifffb.private_seg_size, 0
	.set _Z15nbnxmKernelTestPK15HIP_vector_typeIfLj4EEPN3gmx11BasicVectorIfEES6_S6_P11nbnxn_cj4_tPK9nbnxn_sciPK12nbnxn_excl_tPKiPKS_IfLj2EEifffb.uses_vcc, 1
	.set _Z15nbnxmKernelTestPK15HIP_vector_typeIfLj4EEPN3gmx11BasicVectorIfEES6_S6_P11nbnxn_cj4_tPK9nbnxn_sciPK12nbnxn_excl_tPKiPKS_IfLj2EEifffb.uses_flat_scratch, 0
	.set _Z15nbnxmKernelTestPK15HIP_vector_typeIfLj4EEPN3gmx11BasicVectorIfEES6_S6_P11nbnxn_cj4_tPK9nbnxn_sciPK12nbnxn_excl_tPKiPKS_IfLj2EEifffb.has_dyn_sized_stack, 0
	.set _Z15nbnxmKernelTestPK15HIP_vector_typeIfLj4EEPN3gmx11BasicVectorIfEES6_S6_P11nbnxn_cj4_tPK9nbnxn_sciPK12nbnxn_excl_tPKiPKS_IfLj2EEifffb.has_recursion, 0
	.set _Z15nbnxmKernelTestPK15HIP_vector_typeIfLj4EEPN3gmx11BasicVectorIfEES6_S6_P11nbnxn_cj4_tPK9nbnxn_sciPK12nbnxn_excl_tPKiPKS_IfLj2EEifffb.has_indirect_call, 0
	.section	.AMDGPU.csdata,"",@progbits
; Kernel info:
; codeLenInByte = 8236
; TotalNumSgprs: 53
; NumVgprs: 86
; ScratchSize: 0
; MemoryBound: 0
; FloatMode: 240
; IeeeMode: 1
; LDSByteSize: 2048 bytes/workgroup (compile time only)
; SGPRBlocks: 0
; VGPRBlocks: 5
; NumSGPRsForWavesPerEU: 53
; NumVGPRsForWavesPerEU: 86
; NamedBarCnt: 0
; Occupancy: 10
; WaveLimiterHint : 1
; COMPUTE_PGM_RSRC2:SCRATCH_EN: 0
; COMPUTE_PGM_RSRC2:USER_SGPR: 2
; COMPUTE_PGM_RSRC2:TRAP_HANDLER: 0
; COMPUTE_PGM_RSRC2:TGID_X_EN: 1
; COMPUTE_PGM_RSRC2:TGID_Y_EN: 0
; COMPUTE_PGM_RSRC2:TGID_Z_EN: 1
; COMPUTE_PGM_RSRC2:TIDIG_COMP_CNT: 1
	.text
	.p2alignl 7, 3214868480
	.fill 96, 4, 3214868480
	.section	.AMDGPU.gpr_maximums,"",@progbits
	.set amdgpu.max_num_vgpr, 0
	.set amdgpu.max_num_agpr, 0
	.set amdgpu.max_num_sgpr, 0
	.text
	.type	__hip_cuid_9f33169cfd08d0e6,@object ; @__hip_cuid_9f33169cfd08d0e6
	.section	.bss,"aw",@nobits
	.globl	__hip_cuid_9f33169cfd08d0e6
__hip_cuid_9f33169cfd08d0e6:
	.byte	0                               ; 0x0
	.size	__hip_cuid_9f33169cfd08d0e6, 1

	.ident	"AMD clang version 22.0.0git (https://github.com/RadeonOpenCompute/llvm-project roc-7.2.4 26084 f58b06dce1f9c15707c5f808fd002e18c2accf7e)"
	.section	".note.GNU-stack","",@progbits
	.addrsig
	.addrsig_sym __hip_cuid_9f33169cfd08d0e6
	.amdgpu_metadata
---
amdhsa.kernels:
  - .args:
      - .actual_access:  read_only
        .address_space:  global
        .offset:         0
        .size:           8
        .value_kind:     global_buffer
      - .address_space:  global
        .offset:         8
        .size:           8
        .value_kind:     global_buffer
      - .actual_access:  read_only
        .address_space:  global
        .offset:         16
        .size:           8
        .value_kind:     global_buffer
      - .address_space:  global
        .offset:         24
        .size:           8
        .value_kind:     global_buffer
      - .actual_access:  read_only
        .address_space:  global
        .offset:         32
        .size:           8
        .value_kind:     global_buffer
      - .actual_access:  read_only
        .address_space:  global
        .offset:         40
        .size:           8
        .value_kind:     global_buffer
      - .actual_access:  read_only
        .address_space:  global
        .offset:         48
        .size:           8
        .value_kind:     global_buffer
      - .actual_access:  read_only
        .address_space:  global
        .offset:         56
        .size:           8
        .value_kind:     global_buffer
      - .actual_access:  read_only
        .address_space:  global
        .offset:         64
        .size:           8
        .value_kind:     global_buffer
      - .offset:         72
        .size:           4
        .value_kind:     by_value
      - .offset:         76
        .size:           4
        .value_kind:     by_value
      - .offset:         80
        .size:           4
        .value_kind:     by_value
      - .offset:         84
        .size:           4
        .value_kind:     by_value
      - .offset:         88
        .size:           1
        .value_kind:     by_value
    .group_segment_fixed_size: 2048
    .kernarg_segment_align: 8
    .kernarg_segment_size: 92
    .language:       OpenCL C
    .language_version:
      - 2
      - 0
    .max_flat_workgroup_size: 1024
    .name:           _Z15nbnxmKernelTestPK15HIP_vector_typeIfLj4EEPN3gmx11BasicVectorIfEES6_S6_P11nbnxn_cj4_tPK9nbnxn_sciPK12nbnxn_excl_tPKiPKS_IfLj2EEifffb
    .private_segment_fixed_size: 0
    .sgpr_count:     53
    .sgpr_spill_count: 0
    .symbol:         _Z15nbnxmKernelTestPK15HIP_vector_typeIfLj4EEPN3gmx11BasicVectorIfEES6_S6_P11nbnxn_cj4_tPK9nbnxn_sciPK12nbnxn_excl_tPKiPKS_IfLj2EEifffb.kd
    .uniform_work_group_size: 1
    .uses_dynamic_stack: false
    .vgpr_count:     86
    .vgpr_spill_count: 0
    .wavefront_size: 32
amdhsa.target:   amdgcn-amd-amdhsa--gfx1250
amdhsa.version:
  - 1
  - 2
...

	.end_amdgpu_metadata
